;; amdgpu-corpus repo=ROCm/rocFFT kind=compiled arch=gfx1030 opt=O3
	.text
	.amdgcn_target "amdgcn-amd-amdhsa--gfx1030"
	.amdhsa_code_object_version 6
	.protected	bluestein_single_back_len136_dim1_sp_op_CI_CI ; -- Begin function bluestein_single_back_len136_dim1_sp_op_CI_CI
	.globl	bluestein_single_back_len136_dim1_sp_op_CI_CI
	.p2align	8
	.type	bluestein_single_back_len136_dim1_sp_op_CI_CI,@function
bluestein_single_back_len136_dim1_sp_op_CI_CI: ; @bluestein_single_back_len136_dim1_sp_op_CI_CI
; %bb.0:
	s_load_dwordx4 s[0:3], s[4:5], 0x28
	v_mul_u32_u24_e32 v1, 0xf10, v0
	v_lshrrev_b32_e32 v1, 16, v1
	v_mad_u64_u32 v[36:37], null, s6, 7, v[1:2]
	v_mov_b32_e32 v37, 0
	s_waitcnt lgkmcnt(0)
	v_cmp_gt_u64_e32 vcc_lo, s[0:1], v[36:37]
	s_and_saveexec_b32 s0, vcc_lo
	s_cbranch_execz .LBB0_15
; %bb.1:
	v_mul_hi_u32 v2, 0x24924925, v36
	v_mul_lo_u16 v1, v1, 17
	s_clause 0x1
	s_load_dwordx2 s[6:7], s[4:5], 0x0
	s_load_dwordx2 s[12:13], s[4:5], 0x38
	v_sub_nc_u16 v0, v0, v1
	v_sub_nc_u32_e32 v3, v36, v2
	v_and_b32_e32 v80, 0xffff, v0
	v_cmp_gt_u16_e32 vcc_lo, 8, v0
	v_lshrrev_b32_e32 v3, 1, v3
	v_lshlrev_b32_e32 v63, 3, v80
	v_or_b32_e32 v79, 8, v80
	v_add_nc_u32_e32 v2, v3, v2
	v_or_b32_e32 v78, 16, v80
	v_or_b32_e32 v77, 24, v80
	;; [unrolled: 1-line block ×4, first 2 shown]
	v_lshrrev_b32_e32 v1, 2, v2
	v_or_b32_e32 v74, 48, v80
	v_or_b32_e32 v73, 56, v80
	;; [unrolled: 1-line block ×4, first 2 shown]
	v_mul_lo_u32 v1, v1, 7
	v_or_b32_e32 v70, 0x50, v80
	v_or_b32_e32 v69, 0x58, v80
	;; [unrolled: 1-line block ×7, first 2 shown]
	v_sub_nc_u32_e32 v0, v36, v1
	v_mul_u32_u24_e32 v53, 0x88, v0
	v_or_b32_e32 v0, v53, v80
	v_lshlrev_b32_e32 v81, 3, v0
	s_and_saveexec_b32 s1, vcc_lo
	s_cbranch_execz .LBB0_3
; %bb.2:
	s_load_dwordx2 s[8:9], s[4:5], 0x18
	v_lshl_add_u32 v100, v53, 3, v63
	s_waitcnt lgkmcnt(0)
	s_load_dwordx4 s[8:11], s[8:9], 0x0
	s_clause 0x3
	global_load_dwordx2 v[0:1], v63, s[6:7]
	global_load_dwordx2 v[2:3], v63, s[6:7] offset:64
	global_load_dwordx2 v[4:5], v63, s[6:7] offset:128
	;; [unrolled: 1-line block ×3, first 2 shown]
	s_waitcnt lgkmcnt(0)
	v_mad_u64_u32 v[8:9], null, s10, v36, 0
	v_mad_u64_u32 v[10:11], null, s8, v80, 0
	;; [unrolled: 1-line block ×15, first 2 shown]
	v_mov_b32_e32 v9, v26
	v_mad_u64_u32 v[24:25], null, s8, v73, 0
	v_mov_b32_e32 v17, v30
	v_mov_b32_e32 v19, v31
	v_lshlrev_b64 v[8:9], 3, v[8:9]
	v_mov_b32_e32 v21, v32
	v_mov_b32_e32 v11, v27
	v_mad_u64_u32 v[26:27], null, s8, v72, 0
	v_mov_b32_e32 v13, v28
	v_add_co_u32 v62, s0, s2, v8
	v_add_co_ci_u32_e64 v86, s0, s3, v9, s0
	v_lshlrev_b64 v[8:9], 3, v[16:17]
	v_lshlrev_b64 v[16:17], 3, v[18:19]
	;; [unrolled: 1-line block ×3, first 2 shown]
	v_mad_u64_u32 v[20:21], null, s9, v74, v[23:24]
	v_mov_b32_e32 v15, v29
	v_mad_u64_u32 v[28:29], null, s8, v71, 0
	v_mov_b32_e32 v21, v25
	v_lshlrev_b64 v[10:11], 3, v[10:11]
	v_lshlrev_b64 v[12:13], 3, v[12:13]
	v_mov_b32_e32 v23, v20
	v_mad_u64_u32 v[30:31], null, s8, v70, 0
	v_mad_u64_u32 v[20:21], null, s9, v73, v[21:22]
	v_lshlrev_b64 v[22:23], 3, v[22:23]
	v_mov_b32_e32 v21, v27
	v_mov_b32_e32 v27, v29
	v_lshlrev_b64 v[14:15], 3, v[14:15]
	v_add_co_u32 v10, s0, v62, v10
	v_mad_u64_u32 v[32:33], null, s9, v72, v[21:22]
	v_add_co_ci_u32_e64 v11, s0, v86, v11, s0
	v_mad_u64_u32 v[33:34], null, s9, v71, v[27:28]
	v_add_co_u32 v12, s0, v62, v12
	v_add_co_ci_u32_e64 v13, s0, v86, v13, s0
	v_mov_b32_e32 v21, v31
	v_add_co_u32 v14, s0, v62, v14
	v_add_co_ci_u32_e64 v15, s0, v86, v15, s0
	v_add_co_u32 v8, s0, v62, v8
	v_mov_b32_e32 v25, v20
	v_mad_u64_u32 v[20:21], null, s9, v70, v[21:22]
	v_mov_b32_e32 v27, v32
	v_mov_b32_e32 v29, v33
	v_mad_u64_u32 v[32:33], null, s8, v69, 0
	v_add_co_ci_u32_e64 v9, s0, v86, v9, s0
	v_add_co_u32 v16, s0, v62, v16
	v_add_co_ci_u32_e64 v17, s0, v86, v17, s0
	v_add_co_u32 v18, s0, v62, v18
	;; [unrolled: 2-line block ×3, first 2 shown]
	v_mov_b32_e32 v31, v20
	v_mov_b32_e32 v20, v33
	s_clause 0x3
	global_load_dwordx2 v[10:11], v[10:11], off
	global_load_dwordx2 v[12:13], v[12:13], off
	;; [unrolled: 1-line block ×4, first 2 shown]
	v_add_co_ci_u32_e64 v22, s0, v86, v23, s0
	v_lshlrev_b64 v[23:24], 3, v[24:25]
	v_mad_u64_u32 v[33:34], null, s9, v69, v[20:21]
	s_clause 0x3
	global_load_dwordx2 v[34:35], v63, s[6:7] offset:256
	global_load_dwordx2 v[37:38], v63, s[6:7] offset:320
	;; [unrolled: 1-line block ×4, first 2 shown]
	v_mad_u64_u32 v[43:44], null, s8, v68, 0
	v_lshlrev_b64 v[25:26], 3, v[26:27]
	v_add_co_u32 v23, s0, v62, v23
	v_add_co_ci_u32_e64 v24, s0, v86, v24, s0
	s_clause 0x3
	global_load_dwordx2 v[16:17], v[16:17], off
	global_load_dwordx2 v[18:19], v[18:19], off
	global_load_dwordx2 v[20:21], v[21:22], off
	global_load_dwordx2 v[22:23], v[23:24], off
	v_add_co_u32 v25, s0, v62, v25
	v_mad_u64_u32 v[45:46], null, s8, v67, 0
	v_mov_b32_e32 v24, v44
	v_mad_u64_u32 v[50:51], null, s8, v65, 0
	v_lshlrev_b64 v[27:28], 3, v[28:29]
	v_lshlrev_b64 v[29:30], 3, v[30:31]
	v_mad_u64_u32 v[47:48], null, s9, v68, v[24:25]
	v_mad_u64_u32 v[48:49], null, s8, v66, 0
	v_mov_b32_e32 v24, v46
	v_add_co_ci_u32_e64 v26, s0, v86, v26, s0
	v_add_co_u32 v27, s0, v62, v27
	v_mad_u64_u32 v[82:83], null, s9, v67, v[24:25]
	v_lshlrev_b64 v[31:32], 3, v[32:33]
	v_mov_b32_e32 v33, v49
	v_mov_b32_e32 v24, v51
	v_add_co_ci_u32_e64 v28, s0, v86, v28, s0
	v_add_co_u32 v29, s0, v62, v29
	v_add_co_ci_u32_e64 v30, s0, v86, v30, s0
	v_mov_b32_e32 v44, v47
	v_mad_u64_u32 v[83:84], null, s9, v65, v[24:25]
	v_add_co_u32 v31, s0, v62, v31
	v_mov_b32_e32 v46, v82
	v_add_co_ci_u32_e64 v32, s0, v86, v32, s0
	s_clause 0x3
	global_load_dwordx2 v[54:55], v63, s[6:7] offset:512
	global_load_dwordx2 v[56:57], v63, s[6:7] offset:576
	;; [unrolled: 1-line block ×4, first 2 shown]
	s_clause 0x3
	global_load_dwordx2 v[24:25], v[25:26], off
	global_load_dwordx2 v[26:27], v[27:28], off
	;; [unrolled: 1-line block ×4, first 2 shown]
	v_lshlrev_b64 v[45:46], 3, v[45:46]
	s_waitcnt vmcnt(19)
	v_mul_f32_e32 v90, v11, v1
	s_waitcnt vmcnt(18)
	v_mul_f32_e32 v93, v12, v3
	v_mul_f32_e32 v92, v13, v3
	s_waitcnt vmcnt(17)
	v_mul_f32_e32 v95, v14, v5
	s_waitcnt vmcnt(16)
	v_mul_f32_e32 v97, v8, v7
	v_mul_f32_e32 v3, v9, v7
	s_waitcnt vmcnt(15)
	v_mad_u64_u32 v[51:52], null, s9, v66, v[33:34]
	v_lshlrev_b64 v[32:33], 3, v[43:44]
	v_mad_u64_u32 v[43:44], null, s8, v64, 0
	v_fmac_f32_e32 v90, v10, v0
	v_fma_f32 v93, v13, v2, -v93
	v_fmac_f32_e32 v92, v12, v2
	v_mov_b32_e32 v49, v51
	v_mov_b32_e32 v51, v83
	v_add_co_u32 v32, s0, v62, v32
	v_add_co_ci_u32_e64 v33, s0, v86, v33, s0
	v_lshlrev_b64 v[47:48], 3, v[48:49]
	v_lshlrev_b64 v[49:50], 3, v[50:51]
	v_mad_u64_u32 v[51:52], null, s9, v64, v[44:45]
	v_add_co_u32 v45, s0, v62, v45
	v_add_co_ci_u32_e64 v46, s0, v86, v46, s0
	v_add_co_u32 v47, s0, v62, v47
	v_mov_b32_e32 v44, v51
	v_add_co_ci_u32_e64 v48, s0, v86, v48, s0
	v_add_co_u32 v49, s0, v62, v49
	v_lshlrev_b64 v[43:44], 3, v[43:44]
	v_add_co_ci_u32_e64 v50, s0, v86, v50, s0
	s_clause 0x1
	global_load_dwordx2 v[32:33], v[32:33], off
	global_load_dwordx2 v[45:46], v[45:46], off
	s_clause 0x2
	global_load_dwordx2 v[51:52], v63, s[6:7] offset:768
	global_load_dwordx2 v[82:83], v63, s[6:7] offset:832
	;; [unrolled: 1-line block ×3, first 2 shown]
	s_waitcnt vmcnt(15)
	v_mul_f32_e32 v99, v18, v38
	v_mul_f32_e32 v7, v19, v38
	v_add_co_u32 v43, s0, v62, v43
	v_add_co_ci_u32_e64 v44, s0, v86, v44, s0
	s_clause 0x1
	global_load_dwordx2 v[47:48], v[47:48], off
	global_load_dwordx2 v[49:50], v[49:50], off
	s_clause 0x1
	global_load_dwordx2 v[86:87], v63, s[6:7] offset:960
	global_load_dwordx2 v[88:89], v63, s[6:7] offset:1024
	global_load_dwordx2 v[43:44], v[43:44], off
	v_mul_f32_e32 v62, v10, v1
	v_mul_f32_e32 v1, v15, v5
	v_mul_f32_e32 v5, v17, v35
	v_mul_f32_e32 v35, v16, v35
	s_waitcnt vmcnt(19)
	v_mul_f32_e32 v101, v20, v40
	v_mul_f32_e32 v94, v21, v40
	s_waitcnt vmcnt(18)
	v_mul_f32_e32 v102, v22, v42
	v_mul_f32_e32 v38, v23, v42
	s_waitcnt vmcnt(13)
	v_mul_f32_e32 v42, v24, v55
	v_mul_f32_e32 v40, v25, v55
	s_waitcnt vmcnt(12)
	v_mul_f32_e32 v55, v27, v57
	v_mul_f32_e32 v103, v26, v57
	s_waitcnt vmcnt(11)
	v_mul_f32_e32 v104, v28, v59
	v_mul_f32_e32 v96, v29, v59
	s_waitcnt vmcnt(10)
	v_mul_f32_e32 v105, v30, v61
	v_mul_f32_e32 v57, v31, v61
	v_fma_f32 v91, v11, v0, -v62
	v_fma_f32 v2, v15, v4, -v95
	v_fmac_f32_e32 v1, v14, v4
	v_fma_f32 v4, v9, v6, -v97
	v_fmac_f32_e32 v3, v8, v6
	v_fmac_f32_e32 v5, v16, v34
	v_fma_f32 v6, v17, v34, -v35
	v_fma_f32 v8, v19, v37, -v99
	v_fmac_f32_e32 v7, v18, v37
	v_fma_f32 v95, v21, v39, -v101
	v_fmac_f32_e32 v94, v20, v39
	v_fma_f32 v39, v23, v41, -v102
	v_fmac_f32_e32 v38, v22, v41
	v_fma_f32 v41, v25, v54, -v42
	v_fmac_f32_e32 v40, v24, v54
	v_fmac_f32_e32 v55, v26, v56
	v_fma_f32 v56, v27, v56, -v103
	v_fma_f32 v97, v29, v58, -v104
	v_fmac_f32_e32 v96, v28, v58
	v_fma_f32 v58, v31, v60, -v105
	v_fmac_f32_e32 v57, v30, v60
	s_waitcnt vmcnt(7)
	v_mul_f32_e32 v106, v32, v52
	v_mul_f32_e32 v59, v33, v52
	s_waitcnt vmcnt(6)
	v_mul_f32_e32 v52, v45, v83
	v_mul_f32_e32 v61, v46, v83
	s_waitcnt vmcnt(4)
	v_mul_f32_e32 v107, v47, v85
	v_mul_f32_e32 v98, v48, v85
	s_waitcnt vmcnt(2)
	v_mul_f32_e32 v108, v49, v87
	v_mul_f32_e32 v83, v50, v87
	s_waitcnt vmcnt(0)
	v_mul_f32_e32 v87, v43, v89
	v_mul_f32_e32 v85, v44, v89
	v_fma_f32 v60, v33, v51, -v106
	v_fmac_f32_e32 v59, v32, v51
	v_fma_f32 v62, v46, v82, -v52
	v_fmac_f32_e32 v61, v45, v82
	;; [unrolled: 2-line block ×5, first 2 shown]
	ds_write_b64 v81, v[90:91]
	ds_write2_b64 v100, v[92:93], v[1:2] offset0:8 offset1:16
	ds_write2_b64 v100, v[3:4], v[5:6] offset0:24 offset1:32
	;; [unrolled: 1-line block ×8, first 2 shown]
.LBB0_3:
	s_or_b32 exec_lo, exec_lo, s1
	s_load_dwordx2 s[0:1], s[4:5], 0x20
	v_mov_b32_e32 v51, 0
	v_mov_b32_e32 v52, 0
	v_lshlrev_b32_e32 v82, 3, v53
	s_waitcnt lgkmcnt(0)
	s_barrier
	buffer_gl0_inv
                                        ; implicit-def: $vgpr9
                                        ; implicit-def: $vgpr15
                                        ; implicit-def: $vgpr16
                                        ; implicit-def: $vgpr4
                                        ; implicit-def: $vgpr22
                                        ; implicit-def: $vgpr26
                                        ; implicit-def: $vgpr30
                                        ; implicit-def: $vgpr34
	s_and_saveexec_b32 s2, vcc_lo
	s_cbranch_execz .LBB0_5
; %bb.4:
	v_lshl_add_u32 v0, v80, 3, v82
	ds_read_b64 v[51:52], v81
	ds_read2_b64 v[32:35], v0 offset0:8 offset1:16
	ds_read2_b64 v[28:31], v0 offset0:24 offset1:32
	;; [unrolled: 1-line block ×8, first 2 shown]
.LBB0_5:
	s_or_b32 exec_lo, exec_lo, s2
	s_waitcnt lgkmcnt(0)
	v_sub_f32_e32 v44, v33, v7
	v_sub_f32_e32 v45, v32, v6
	v_add_f32_e32 v62, v6, v32
	v_add_f32_e32 v85, v7, v33
	v_sub_f32_e32 v47, v35, v5
	v_mul_f32_e32 v84, 0xbeb8f4ab, v44
	v_mul_f32_e32 v86, 0xbeb8f4ab, v45
	v_sub_f32_e32 v46, v34, v4
	v_add_f32_e32 v54, v4, v34
	v_add_f32_e32 v56, v5, v35
	v_fmamk_f32 v0, v62, 0x3f6eb680, v84
	v_fma_f32 v1, 0x3f6eb680, v85, -v86
	v_mul_f32_e32 v55, 0xbf2c7751, v47
	v_mul_f32_e32 v57, 0xbf2c7751, v46
	v_sub_f32_e32 v49, v29, v19
	v_sub_f32_e32 v48, v28, v18
	v_add_f32_e32 v0, v0, v51
	v_add_f32_e32 v1, v1, v52
	v_fmamk_f32 v2, v54, 0x3f3d2fb0, v55
	v_fma_f32 v3, 0x3f3d2fb0, v56, -v57
	v_add_f32_e32 v59, v18, v28
	v_mul_f32_e32 v58, 0xbf65296c, v49
	v_add_f32_e32 v61, v19, v29
	v_mul_f32_e32 v60, 0xbf65296c, v48
	v_sub_f32_e32 v83, v31, v17
	v_sub_f32_e32 v50, v30, v16
	v_add_f32_e32 v0, v2, v0
	v_add_f32_e32 v1, v3, v1
	v_fmamk_f32 v2, v59, 0x3ee437d1, v58
	v_fma_f32 v3, 0x3ee437d1, v61, -v60
	v_add_f32_e32 v87, v16, v30
	v_add_f32_e32 v89, v17, v31
	v_mul_f32_e32 v88, 0xbf7ee86f, v83
	v_mul_f32_e32 v90, 0xbf7ee86f, v50
	v_sub_f32_e32 v204, v25, v11
	v_sub_f32_e32 v203, v24, v10
	v_add_f32_e32 v0, v2, v0
	v_add_f32_e32 v1, v3, v1
	v_fmamk_f32 v2, v87, 0x3dbcf732, v88
	v_fma_f32 v3, 0x3dbcf732, v89, -v90
	v_add_f32_e32 v92, v10, v24
	v_mul_f32_e32 v91, 0xbf763a35, v204
	v_add_f32_e32 v94, v11, v25
	v_mul_f32_e32 v93, 0xbf763a35, v203
	v_sub_f32_e32 v206, v27, v9
	v_sub_f32_e32 v205, v26, v8
	v_add_f32_e32 v0, v2, v0
	v_add_f32_e32 v1, v3, v1
	v_fmamk_f32 v2, v92, 0xbe8c1d8e, v91
	v_fma_f32 v3, 0xbe8c1d8e, v94, -v93
	v_add_f32_e32 v96, v8, v26
	v_add_f32_e32 v97, v9, v27
	v_mul_f32_e32 v95, 0xbf4c4adb, v206
	v_mul_f32_e32 v98, 0xbf4c4adb, v205
	v_sub_f32_e32 v208, v21, v15
	v_sub_f32_e32 v207, v20, v14
	v_add_f32_e32 v0, v2, v0
	v_add_f32_e32 v1, v3, v1
	v_fmamk_f32 v2, v96, 0xbf1a4643, v95
	v_fma_f32 v3, 0xbf1a4643, v97, -v98
	v_add_f32_e32 v100, v14, v20
	v_mul_f32_e32 v99, 0xbf06c442, v208
	v_add_f32_e32 v102, v15, v21
	v_mul_f32_e32 v101, 0xbf06c442, v207
	v_add_f32_e32 v0, v2, v0
	v_add_f32_e32 v1, v3, v1
	v_fmamk_f32 v2, v100, 0xbf59a7d5, v99
	v_mul_f32_e32 v121, 0xbf2c7751, v44
	v_fma_f32 v3, 0xbf59a7d5, v102, -v101
	v_mul_f32_e32 v122, 0xbf2c7751, v45
	v_mul_f32_e32 v107, 0xbf7ee86f, v47
	v_add_f32_e32 v0, v2, v0
	v_fmamk_f32 v2, v62, 0x3f3d2fb0, v121
	v_add_f32_e32 v1, v3, v1
	v_fma_f32 v3, 0x3f3d2fb0, v85, -v122
	v_mul_f32_e32 v111, 0xbf7ee86f, v46
	v_sub_f32_e32 v210, v23, v13
	v_add_f32_e32 v2, v2, v51
	v_fmamk_f32 v37, v54, 0x3dbcf732, v107
	v_add_f32_e32 v3, v3, v52
	v_fma_f32 v38, 0x3dbcf732, v56, -v111
	v_mul_f32_e32 v108, 0xbf4c4adb, v49
	v_mul_f32_e32 v113, 0xbf4c4adb, v48
	v_sub_f32_e32 v209, v22, v12
	v_add_f32_e32 v103, v12, v22
	v_mul_f32_e32 v104, 0xbe3c28d5, v210
	v_add_f32_e32 v2, v37, v2
	v_add_f32_e32 v3, v38, v3
	v_fmamk_f32 v37, v59, 0xbf1a4643, v108
	v_fma_f32 v38, 0xbf1a4643, v61, -v113
	v_mul_f32_e32 v109, 0xbe3c28d5, v83
	v_mul_f32_e32 v115, 0xbe3c28d5, v50
	v_add_f32_e32 v105, v13, v23
	v_mul_f32_e32 v106, 0xbe3c28d5, v209
	v_fmamk_f32 v39, v103, 0xbf7ba420, v104
	v_add_f32_e32 v37, v37, v2
	v_add_f32_e32 v3, v38, v3
	v_fmamk_f32 v38, v87, 0xbf7ba420, v109
	v_fma_f32 v41, 0xbf7ba420, v89, -v115
	v_mul_f32_e32 v112, 0x3f06c442, v204
	v_mul_f32_e32 v117, 0x3f06c442, v203
	v_fma_f32 v40, 0xbf7ba420, v105, -v106
	v_add_f32_e32 v2, v39, v0
	v_add_f32_e32 v0, v38, v37
	;; [unrolled: 1-line block ×3, first 2 shown]
	v_fmamk_f32 v38, v92, 0xbf59a7d5, v112
	v_fma_f32 v39, 0xbf59a7d5, v94, -v117
	v_mul_f32_e32 v114, 0x3f763a35, v206
	v_mul_f32_e32 v118, 0x3f763a35, v205
	v_add_f32_e32 v3, v40, v1
	v_add_f32_e32 v0, v38, v0
	;; [unrolled: 1-line block ×3, first 2 shown]
	v_fmamk_f32 v37, v96, 0xbe8c1d8e, v114
	v_fma_f32 v38, 0xbe8c1d8e, v97, -v118
	v_mul_f32_e32 v116, 0x3f65296c, v208
	v_mul_f32_e32 v119, 0x3f65296c, v207
	;; [unrolled: 1-line block ×3, first 2 shown]
	v_add_f32_e32 v0, v37, v0
	v_add_f32_e32 v1, v38, v1
	v_fmamk_f32 v37, v100, 0x3ee437d1, v116
	v_fma_f32 v38, 0x3ee437d1, v102, -v119
	v_fmamk_f32 v39, v62, 0x3ee437d1, v127
	v_mul_f32_e32 v128, 0xbf4c4adb, v47
	v_mul_f32_e32 v138, 0xbf65296c, v45
	v_add_f32_e32 v0, v37, v0
	v_add_f32_e32 v1, v38, v1
	;; [unrolled: 1-line block ×3, first 2 shown]
	v_fmamk_f32 v38, v54, 0xbf1a4643, v128
	v_fma_f32 v39, 0x3ee437d1, v85, -v138
	v_mul_f32_e32 v142, 0xbf4c4adb, v46
	v_mul_f32_e32 v133, 0x3e3c28d5, v49
	v_mul_f32_e32 v144, 0x3e3c28d5, v48
	v_add_f32_e32 v37, v38, v37
	v_add_f32_e32 v38, v39, v52
	v_fma_f32 v39, 0xbf1a4643, v56, -v142
	v_fmamk_f32 v40, v59, 0xbf7ba420, v133
	v_mul_f32_e32 v136, 0x3f763a35, v83
	v_mul_f32_e32 v147, 0x3f763a35, v50
	v_mul_f32_e32 v139, 0x3f2c7751, v204
	v_add_f32_e32 v38, v39, v38
	v_add_f32_e32 v37, v40, v37
	v_fma_f32 v39, 0xbf7ba420, v61, -v144
	v_fmamk_f32 v40, v87, 0xbe8c1d8e, v136
	;; [unrolled: 7-line block ×3, first 2 shown]
	v_mul_f32_e32 v148, 0xbeb8f4ab, v205
	v_mul_f32_e32 v145, 0xbf7ee86f, v208
	v_fmamk_f32 v41, v103, 0x3f6eb680, v110
	v_add_f32_e32 v38, v39, v38
	v_add_f32_e32 v37, v40, v37
	v_fma_f32 v39, 0x3f3d2fb0, v94, -v149
	v_fmamk_f32 v40, v96, 0x3f6eb680, v143
	v_mul_f32_e32 v120, 0x3eb8f4ab, v209
	v_mul_f32_e32 v150, 0xbf7ee86f, v207
	;; [unrolled: 1-line block ×3, first 2 shown]
	v_add_f32_e32 v38, v39, v38
	v_add_f32_e32 v37, v40, v37
	v_fma_f32 v39, 0x3f6eb680, v97, -v148
	v_fmamk_f32 v40, v100, 0x3dbcf732, v145
	v_add_f32_e32 v0, v41, v0
	v_fma_f32 v41, 0x3f6eb680, v105, -v120
	v_mul_f32_e32 v123, 0xbe3c28d5, v47
	v_add_f32_e32 v38, v39, v38
	v_fma_f32 v39, 0x3dbcf732, v102, -v150
	v_add_f32_e32 v37, v40, v37
	v_fmamk_f32 v40, v62, 0x3dbcf732, v146
	v_mul_f32_e32 v151, 0xbf7ee86f, v45
	v_add_f32_e32 v1, v41, v1
	v_add_f32_e32 v38, v39, v38
	v_mul_f32_e32 v152, 0xbf06c442, v210
	v_add_f32_e32 v39, v40, v51
	v_fmamk_f32 v40, v54, 0xbf7ba420, v123
	v_fma_f32 v41, 0x3dbcf732, v85, -v151
	v_mul_f32_e32 v130, 0xbe3c28d5, v46
	v_mul_f32_e32 v124, 0x3f763a35, v49
	v_fmamk_f32 v42, v103, 0xbf59a7d5, v152
	v_add_f32_e32 v39, v40, v39
	v_add_f32_e32 v40, v41, v52
	v_fma_f32 v41, 0xbf7ba420, v56, -v130
	v_fmamk_f32 v43, v59, 0xbe8c1d8e, v124
	v_mul_f32_e32 v132, 0x3f763a35, v48
	v_mul_f32_e32 v125, 0x3eb8f4ab, v83
	v_add_f32_e32 v37, v42, v37
	v_add_f32_e32 v40, v41, v40
	;; [unrolled: 1-line block ×3, first 2 shown]
	v_fma_f32 v41, 0xbe8c1d8e, v61, -v132
	v_fmamk_f32 v42, v87, 0x3f6eb680, v125
	v_mul_f32_e32 v135, 0x3eb8f4ab, v50
	v_mul_f32_e32 v126, 0xbf65296c, v204
	;; [unrolled: 1-line block ×3, first 2 shown]
	v_add_f32_e32 v40, v41, v40
	v_add_f32_e32 v39, v42, v39
	v_fma_f32 v41, 0x3f6eb680, v89, -v135
	v_fmamk_f32 v42, v92, 0x3ee437d1, v126
	v_mul_f32_e32 v129, 0xbf06c442, v206
	v_mul_f32_e32 v154, 0xbf06c442, v209
	v_mul_f32_e32 v141, 0xbf06c442, v205
	v_add_f32_e32 v40, v41, v40
	v_add_f32_e32 v39, v42, v39
	v_fma_f32 v41, 0x3ee437d1, v94, -v137
	v_fmamk_f32 v42, v96, 0xbf59a7d5, v129
	v_mul_f32_e32 v131, 0x3f4c4adb, v208
	v_fma_f32 v43, 0xbf59a7d5, v105, -v154
	v_mul_f32_e32 v140, 0x3f4c4adb, v207
	v_add_f32_e32 v40, v41, v40
	v_fma_f32 v41, 0xbf59a7d5, v97, -v141
	v_add_f32_e32 v39, v42, v39
	v_fmamk_f32 v42, v100, 0xbf1a4643, v131
	v_mul_f32_e32 v168, 0xbf763a35, v44
	v_mul_f32_e32 v173, 0xbf763a35, v45
	v_add_f32_e32 v38, v43, v38
	v_add_f32_e32 v40, v41, v40
	;; [unrolled: 1-line block ×3, first 2 shown]
	v_fma_f32 v41, 0xbf1a4643, v102, -v140
	v_fmamk_f32 v42, v62, 0xbe8c1d8e, v168
	v_mul_f32_e32 v171, 0x3f06c442, v47
	v_fma_f32 v43, 0xbe8c1d8e, v85, -v173
	v_mul_f32_e32 v175, 0x3f06c442, v46
	v_add_f32_e32 v40, v41, v40
	v_add_f32_e32 v41, v42, v51
	v_fmamk_f32 v42, v54, 0xbf59a7d5, v171
	v_add_f32_e32 v43, v43, v52
	v_fma_f32 v153, 0xbf59a7d5, v56, -v175
	v_mul_f32_e32 v172, 0x3f2c7751, v49
	v_mul_f32_e32 v177, 0x3f2c7751, v48
	;; [unrolled: 1-line block ×3, first 2 shown]
	v_add_f32_e32 v41, v42, v41
	v_add_f32_e32 v42, v153, v43
	v_fmamk_f32 v43, v59, 0x3f3d2fb0, v172
	v_fma_f32 v153, 0x3f3d2fb0, v61, -v177
	v_mul_f32_e32 v174, 0xbf65296c, v83
	v_mul_f32_e32 v179, 0xbf65296c, v50
	v_fmamk_f32 v155, v103, 0x3f3d2fb0, v134
	v_add_f32_e32 v41, v43, v41
	v_add_f32_e32 v42, v153, v42
	v_fmamk_f32 v43, v87, 0x3ee437d1, v174
	v_fma_f32 v153, 0x3ee437d1, v89, -v179
	v_mul_f32_e32 v176, 0xbe3c28d5, v204
	v_mul_f32_e32 v181, 0xbe3c28d5, v203
	v_add_f32_e32 v39, v155, v39
	v_add_f32_e32 v41, v43, v41
	v_add_f32_e32 v42, v153, v42
	v_fmamk_f32 v43, v92, 0xbf7ba420, v176
	v_fma_f32 v155, 0xbf7ba420, v94, -v181
	v_mul_f32_e32 v178, 0x3f7ee86f, v206
	v_mul_f32_e32 v183, 0x3f7ee86f, v205
	;; [unrolled: 1-line block ×3, first 2 shown]
	v_add_f32_e32 v41, v43, v41
	v_add_f32_e32 v42, v155, v42
	v_fmamk_f32 v43, v96, 0x3dbcf732, v178
	v_mul_f32_e32 v180, 0xbeb8f4ab, v208
	v_fma_f32 v155, 0x3dbcf732, v97, -v183
	v_mul_f32_e32 v184, 0xbeb8f4ab, v207
	v_fma_f32 v156, 0x3f3d2fb0, v105, -v153
	v_add_f32_e32 v41, v43, v41
	v_fmamk_f32 v43, v100, 0x3f6eb680, v180
	v_add_f32_e32 v42, v155, v42
	v_fma_f32 v155, 0x3f6eb680, v102, -v184
	v_mul_f32_e32 v161, 0xbf4c4adb, v44
	v_mul_f32_e32 v166, 0xbf4c4adb, v45
	v_add_f32_e32 v40, v156, v40
	v_add_f32_e32 v41, v43, v41
	;; [unrolled: 1-line block ×3, first 2 shown]
	v_mul_f32_e32 v185, 0xbf4c4adb, v210
	v_fmamk_f32 v43, v62, 0xbf1a4643, v161
	v_mul_f32_e32 v155, 0x3f763a35, v47
	v_fma_f32 v156, 0xbf1a4643, v85, -v166
	v_mul_f32_e32 v158, 0x3f763a35, v46
	v_fmamk_f32 v157, v103, 0xbf1a4643, v185
	v_add_f32_e32 v43, v43, v51
	v_fmamk_f32 v159, v54, 0xbe8c1d8e, v155
	v_add_f32_e32 v162, v156, v52
	v_fma_f32 v163, 0xbe8c1d8e, v56, -v158
	v_mul_f32_e32 v156, 0xbeb8f4ab, v49
	v_mul_f32_e32 v160, 0xbeb8f4ab, v48
	v_add_f32_e32 v41, v157, v41
	v_add_f32_e32 v43, v159, v43
	;; [unrolled: 1-line block ×3, first 2 shown]
	v_fmamk_f32 v162, v59, 0x3f6eb680, v156
	v_fma_f32 v163, 0x3f6eb680, v61, -v160
	v_mul_f32_e32 v157, 0xbf06c442, v83
	v_mul_f32_e32 v165, 0xbf06c442, v50
	;; [unrolled: 1-line block ×3, first 2 shown]
	v_add_f32_e32 v43, v162, v43
	v_add_f32_e32 v162, v163, v159
	v_fmamk_f32 v163, v87, 0xbf59a7d5, v157
	v_fma_f32 v164, 0xbf59a7d5, v89, -v165
	v_mul_f32_e32 v159, 0x3f7ee86f, v204
	v_mul_f32_e32 v167, 0x3f7ee86f, v203
	v_fma_f32 v170, 0xbf1a4643, v105, -v186
	v_add_f32_e32 v43, v163, v43
	v_add_f32_e32 v163, v164, v162
	v_fmamk_f32 v164, v92, 0x3dbcf732, v159
	v_fma_f32 v182, 0x3dbcf732, v94, -v167
	v_mul_f32_e32 v162, 0xbf2c7751, v206
	v_mul_f32_e32 v169, 0xbf2c7751, v205
	v_add_f32_e32 v42, v170, v42
	v_add_f32_e32 v43, v164, v43
	;; [unrolled: 1-line block ×3, first 2 shown]
	v_fmamk_f32 v182, v96, 0x3f3d2fb0, v162
	v_fma_f32 v188, 0x3f3d2fb0, v97, -v169
	v_mul_f32_e32 v163, 0xbe3c28d5, v208
	v_mul_f32_e32 v170, 0xbe3c28d5, v207
	;; [unrolled: 1-line block ×3, first 2 shown]
	v_add_f32_e32 v43, v182, v43
	v_add_f32_e32 v164, v188, v164
	v_fmamk_f32 v182, v100, 0xbf7ba420, v163
	v_fma_f32 v189, 0xbf7ba420, v102, -v170
	v_fmamk_f32 v191, v62, 0xbf59a7d5, v187
	v_mul_f32_e32 v188, 0x3f65296c, v47
	v_mul_f32_e32 v190, 0xbf06c442, v45
	v_add_f32_e32 v43, v182, v43
	v_add_f32_e32 v201, v189, v164
	;; [unrolled: 1-line block ×3, first 2 shown]
	v_fmamk_f32 v191, v54, 0x3ee437d1, v188
	v_fma_f32 v193, 0xbf59a7d5, v85, -v190
	v_mul_f32_e32 v192, 0x3f65296c, v46
	v_mul_f32_e32 v189, 0xbf7ee86f, v49
	;; [unrolled: 1-line block ×3, first 2 shown]
	v_add_f32_e32 v182, v191, v182
	v_add_f32_e32 v193, v193, v52
	v_fma_f32 v194, 0x3ee437d1, v56, -v192
	v_fmamk_f32 v195, v59, 0x3dbcf732, v189
	v_mul_f32_e32 v196, 0xbf7ee86f, v48
	v_mul_f32_e32 v191, 0x3f4c4adb, v83
	v_fmamk_f32 v198, v103, 0x3ee437d1, v164
	v_add_f32_e32 v194, v194, v193
	v_add_f32_e32 v182, v195, v182
	v_fma_f32 v195, 0x3dbcf732, v61, -v196
	v_fmamk_f32 v199, v87, 0xbf1a4643, v191
	v_mul_f32_e32 v197, 0x3f4c4adb, v50
	v_mul_f32_e32 v193, 0xbeb8f4ab, v204
	v_add_f32_e32 v43, v198, v43
	v_add_f32_e32 v195, v195, v194
	;; [unrolled: 1-line block ×3, first 2 shown]
	v_fma_f32 v200, 0xbf1a4643, v89, -v197
	v_fmamk_f32 v202, v92, 0x3f6eb680, v193
	v_mul_f32_e32 v198, 0xbeb8f4ab, v203
	v_mul_f32_e32 v194, 0xbe3c28d5, v206
	;; [unrolled: 1-line block ×3, first 2 shown]
	v_add_f32_e32 v211, v200, v195
	v_add_f32_e32 v199, v202, v199
	v_fma_f32 v202, 0x3f6eb680, v94, -v198
	v_fmamk_f32 v212, v96, 0xbf7ba420, v194
	v_mul_f32_e32 v200, 0xbe3c28d5, v205
	v_fma_f32 v213, 0x3ee437d1, v105, -v182
	v_mul_f32_e32 v195, 0x3f2c7751, v208
	v_add_f32_e32 v202, v202, v211
	v_add_f32_e32 v211, v212, v199
	v_fma_f32 v212, 0xbf7ba420, v97, -v200
	v_mul_f32_e32 v199, 0x3f2c7751, v207
	v_mul_f32_e32 v215, 0xbe3c28d5, v44
	v_fmamk_f32 v214, v100, 0x3f3d2fb0, v195
	v_add_f32_e32 v44, v213, v201
	v_add_f32_e32 v201, v212, v202
	v_fma_f32 v202, 0x3f3d2fb0, v102, -v199
	v_fma_f32 v212, 0xbf7ba420, v62, -v215
	v_mul_f32_e32 v47, 0x3eb8f4ab, v47
	v_mul_f32_e32 v213, 0xbe3c28d5, v45
	v_add_f32_e32 v211, v214, v211
	v_add_f32_e32 v214, v202, v201
	v_add_f32_e32 v45, v212, v51
	v_fma_f32 v202, 0x3f6eb680, v54, -v47
	v_fmamk_f32 v212, v85, 0xbf7ba420, v213
	v_mul_f32_e32 v46, 0x3eb8f4ab, v46
	v_mul_f32_e32 v49, 0xbf06c442, v49
	v_fmac_f32_e32 v215, 0xbf7ba420, v62
	v_fma_f32 v213, 0xbf7ba420, v85, -v213
	v_mul_f32_e32 v201, 0xbf763a35, v210
	v_add_f32_e32 v45, v202, v45
	v_add_f32_e32 v212, v212, v52
	v_fmamk_f32 v217, v56, 0x3f6eb680, v46
	v_fma_f32 v218, 0xbf59a7d5, v59, -v49
	v_mul_f32_e32 v48, 0xbf06c442, v48
	v_add_f32_e32 v215, v215, v51
	v_fmac_f32_e32 v47, 0x3f6eb680, v54
	v_add_f32_e32 v213, v213, v52
	v_fma_f32 v46, 0x3f6eb680, v56, -v46
	v_fmamk_f32 v216, v103, 0xbe8c1d8e, v201
	v_mul_f32_e32 v83, 0x3f2c7751, v83
	v_add_f32_e32 v212, v217, v212
	v_add_f32_e32 v217, v218, v45
	v_fmamk_f32 v218, v61, 0xbf59a7d5, v48
	v_mul_f32_e32 v50, 0x3f2c7751, v50
	v_add_f32_e32 v47, v47, v215
	v_add_f32_e32 v46, v46, v213
	v_fmac_f32_e32 v49, 0xbf59a7d5, v59
	v_fma_f32 v48, 0xbf59a7d5, v61, -v48
	v_fma_f32 v219, 0x3f3d2fb0, v87, -v83
	v_add_f32_e32 v45, v216, v211
	v_add_f32_e32 v212, v218, v212
	v_fmamk_f32 v216, v89, 0x3f3d2fb0, v50
	v_mul_f32_e32 v204, 0xbf4c4adb, v204
	v_mul_f32_e32 v203, 0xbf4c4adb, v203
	v_add_f32_e32 v47, v49, v47
	v_add_f32_e32 v46, v48, v46
	v_fmac_f32_e32 v83, 0x3f3d2fb0, v87
	v_fma_f32 v48, 0x3f3d2fb0, v89, -v50
	v_add_f32_e32 v217, v219, v217
	v_add_f32_e32 v212, v216, v212
	v_fma_f32 v216, 0xbf1a4643, v92, -v204
	v_fmamk_f32 v218, v94, 0xbf1a4643, v203
	v_mul_f32_e32 v206, 0x3f65296c, v206
	v_mul_f32_e32 v205, 0x3f65296c, v205
	v_add_f32_e32 v47, v83, v47
	v_add_f32_e32 v46, v48, v46
	v_fmac_f32_e32 v204, 0xbf1a4643, v92
	v_fma_f32 v48, 0xbf1a4643, v94, -v203
	v_add_f32_e32 v216, v216, v217
	v_add_f32_e32 v212, v218, v212
	v_fma_f32 v213, 0x3ee437d1, v96, -v206
	v_mul_f32_e32 v208, 0xbf763a35, v208
	v_fmamk_f32 v50, v97, 0x3ee437d1, v205
	v_mul_f32_e32 v83, 0xbf763a35, v207
	v_add_f32_e32 v47, v204, v47
	v_add_f32_e32 v46, v48, v46
	v_fmac_f32_e32 v206, 0x3ee437d1, v96
	v_fma_f32 v48, 0x3ee437d1, v97, -v205
	s_load_dwordx2 s[2:3], s[4:5], 0x8
	v_mul_f32_e32 v202, 0xbf763a35, v209
	v_add_f32_e32 v49, v213, v216
	v_fma_f32 v213, 0xbe8c1d8e, v100, -v208
	v_add_f32_e32 v50, v50, v212
	v_fmamk_f32 v203, v102, 0xbe8c1d8e, v83
	v_mul_f32_e32 v204, 0x3f7ee86f, v210
	v_mul_f32_e32 v205, 0x3f7ee86f, v209
	v_add_f32_e32 v47, v206, v47
	v_add_f32_e32 v46, v48, v46
	v_fmac_f32_e32 v208, 0xbe8c1d8e, v100
	v_fma_f32 v48, 0xbe8c1d8e, v102, -v83
	v_fma_f32 v211, 0xbe8c1d8e, v105, -v202
	v_add_f32_e32 v49, v213, v49
	v_add_f32_e32 v50, v203, v50
	v_fma_f32 v83, 0x3dbcf732, v103, -v204
	v_fmamk_f32 v203, v105, 0x3dbcf732, v205
	v_add_f32_e32 v47, v208, v47
	v_add_f32_e32 v48, v48, v46
	v_fmac_f32_e32 v204, 0x3dbcf732, v103
	v_fma_f32 v205, 0x3dbcf732, v105, -v205
	v_add_f32_e32 v46, v211, v214
	v_add_f32_e32 v49, v83, v49
	v_add_f32_e32 v50, v203, v50
	v_add_f32_e32 v47, v204, v47
	v_add_f32_e32 v48, v205, v48
	v_mul_lo_u16 v83, v80, 17
	s_waitcnt lgkmcnt(0)
	s_barrier
	buffer_gl0_inv
	s_and_saveexec_b32 s4, vcc_lo
	s_cbranch_execz .LBB0_7
; %bb.6:
	v_add_f32_e32 v32, v32, v51
	v_add_f32_e32 v33, v33, v52
	;; [unrolled: 1-line block ×6, first 2 shown]
	v_mul_f32_e32 v32, 0xbf59a7d5, v102
	v_mul_f32_e32 v33, 0x3f6eb680, v103
	v_add_f32_e32 v28, v30, v28
	v_add_f32_e32 v29, v31, v29
	v_mul_f32_e32 v30, 0x3f3d2fb0, v56
	v_mul_f32_e32 v31, 0x3f3d2fb0, v54
	v_add_f32_e32 v32, v101, v32
	v_add_f32_e32 v24, v24, v28
	;; [unrolled: 1-line block ×4, first 2 shown]
	v_sub_f32_e32 v31, v31, v55
	v_mul_f32_e32 v28, 0x3f3d2fb0, v105
	v_add_f32_e32 v24, v26, v24
	v_add_f32_e32 v25, v27, v25
	v_mul_f32_e32 v26, 0xbf7ba420, v56
	v_mul_f32_e32 v27, 0x3ee437d1, v105
	v_sub_f32_e32 v33, v33, v110
	v_add_f32_e32 v20, v20, v24
	v_add_f32_e32 v21, v21, v25
	v_mul_f32_e32 v24, 0xbe8c1d8e, v56
	v_mul_f32_e32 v25, 0xbe8c1d8e, v54
	v_add_f32_e32 v26, v130, v26
	v_add_f32_e32 v20, v22, v20
	;; [unrolled: 1-line block ×4, first 2 shown]
	v_sub_f32_e32 v25, v25, v155
	v_mul_f32_e32 v22, 0x3f6eb680, v85
	v_add_f32_e32 v12, v12, v20
	v_add_f32_e32 v13, v13, v21
	v_mul_f32_e32 v20, 0x3f3d2fb0, v85
	v_mul_f32_e32 v21, 0x3f3d2fb0, v62
	v_add_f32_e32 v22, v86, v22
	v_add_f32_e32 v12, v14, v12
	;; [unrolled: 1-line block ×3, first 2 shown]
	v_mul_f32_e32 v15, 0x3ee437d1, v54
	v_add_f32_e32 v20, v122, v20
	v_sub_f32_e32 v21, v21, v121
	v_add_f32_e32 v8, v8, v12
	v_add_f32_e32 v9, v9, v13
	v_mul_f32_e32 v12, 0xbf59a7d5, v62
	v_sub_f32_e32 v15, v15, v188
	v_mul_f32_e32 v13, 0x3f6eb680, v94
	v_add_f32_e32 v8, v10, v8
	v_add_f32_e32 v9, v11, v9
	v_sub_f32_e32 v12, v12, v187
	v_mul_f32_e32 v10, 0x3dbcf732, v61
	v_mul_f32_e32 v11, 0xbf1a4643, v89
	v_add_f32_e32 v8, v16, v8
	v_add_f32_e32 v9, v17, v9
	;; [unrolled: 1-line block ×6, first 2 shown]
	v_mul_f32_e32 v8, 0xbf59a7d5, v85
	v_add_f32_e32 v14, v19, v9
	v_mul_f32_e32 v9, 0x3ee437d1, v56
	v_mul_f32_e32 v18, 0x3dbcf732, v59
	;; [unrolled: 1-line block ×3, first 2 shown]
	v_add_f32_e32 v8, v190, v8
	v_mul_f32_e32 v17, 0xbf7ba420, v97
	v_add_f32_e32 v9, v192, v9
	v_sub_f32_e32 v18, v18, v189
	v_sub_f32_e32 v19, v19, v191
	v_add_f32_e32 v8, v8, v52
	v_add_f32_e32 v17, v200, v17
	v_add_f32_e32 v20, v20, v52
	v_mul_f32_e32 v23, 0x3f6eb680, v62
	v_add_f32_e32 v21, v21, v51
	v_add_f32_e32 v8, v9, v8
	;; [unrolled: 1-line block ×3, first 2 shown]
	v_mul_f32_e32 v12, 0xbf7ba420, v96
	v_sub_f32_e32 v23, v23, v84
	v_add_f32_e32 v22, v22, v52
	v_add_f32_e32 v8, v10, v8
	;; [unrolled: 1-line block ×3, first 2 shown]
	v_mul_f32_e32 v10, 0x3f6eb680, v92
	v_sub_f32_e32 v12, v12, v194
	v_add_f32_e32 v23, v23, v51
	v_add_f32_e32 v8, v11, v8
	;; [unrolled: 1-line block ×3, first 2 shown]
	v_sub_f32_e32 v10, v10, v193
	v_mul_f32_e32 v11, 0x3f3d2fb0, v102
	v_add_f32_e32 v22, v30, v22
	v_add_f32_e32 v8, v13, v8
	;; [unrolled: 1-line block ×3, first 2 shown]
	v_mul_f32_e32 v13, 0xbf59a7d5, v54
	v_add_f32_e32 v11, v199, v11
	v_mul_f32_e32 v19, 0x3dbcf732, v62
	v_add_f32_e32 v8, v17, v8
	v_add_f32_e32 v9, v10, v9
	v_mul_f32_e32 v10, 0x3f3d2fb0, v100
	v_sub_f32_e32 v13, v13, v171
	v_mul_f32_e32 v17, 0x3f6eb680, v97
	v_add_f32_e32 v8, v11, v8
	v_add_f32_e32 v9, v12, v9
	v_sub_f32_e32 v10, v10, v195
	v_mul_f32_e32 v11, 0xbe8c1d8e, v105
	v_add_f32_e32 v17, v148, v17
	v_sub_f32_e32 v19, v19, v146
	v_mul_f32_e32 v30, 0x3ee437d1, v61
	v_add_f32_e32 v10, v10, v9
	v_mul_f32_e32 v9, 0xbe8c1d8e, v103
	v_add_f32_e32 v11, v202, v11
	v_add_f32_e32 v19, v19, v51
	;; [unrolled: 1-line block ×4, first 2 shown]
	v_sub_f32_e32 v12, v9, v201
	v_add_f32_e32 v9, v11, v8
	v_mul_f32_e32 v11, 0xbf59a7d5, v56
	v_mul_f32_e32 v31, 0x3ee437d1, v59
	v_add_f32_e32 v22, v30, v22
	v_add_f32_e32 v8, v12, v10
	v_mul_f32_e32 v10, 0xbe8c1d8e, v85
	v_add_f32_e32 v11, v175, v11
	v_mul_f32_e32 v12, 0xbe8c1d8e, v62
	v_sub_f32_e32 v31, v31, v58
	v_mul_f32_e32 v30, 0x3dbcf732, v89
	v_add_f32_e32 v10, v173, v10
	v_add_f32_e32 v27, v182, v27
	v_sub_f32_e32 v12, v12, v168
	v_add_f32_e32 v23, v31, v23
	v_add_f32_e32 v30, v90, v30
	;; [unrolled: 1-line block ×3, first 2 shown]
	v_mul_f32_e32 v31, 0x3dbcf732, v87
	v_add_f32_e32 v12, v12, v51
	v_add_f32_e32 v14, v5, v14
	;; [unrolled: 1-line block ×4, first 2 shown]
	v_mul_f32_e32 v11, 0x3f3d2fb0, v61
	v_add_f32_e32 v12, v13, v12
	v_mul_f32_e32 v13, 0x3f3d2fb0, v59
	v_sub_f32_e32 v31, v31, v88
	v_mul_f32_e32 v30, 0xbe8c1d8e, v94
	v_add_f32_e32 v11, v177, v11
	v_add_f32_e32 v16, v4, v16
	v_sub_f32_e32 v13, v13, v172
	v_add_f32_e32 v23, v31, v23
	v_add_f32_e32 v30, v93, v30
	;; [unrolled: 1-line block ×3, first 2 shown]
	v_mul_f32_e32 v11, 0x3ee437d1, v89
	v_add_f32_e32 v12, v13, v12
	v_mul_f32_e32 v13, 0x3ee437d1, v87
	v_mul_f32_e32 v31, 0xbe8c1d8e, v92
	v_add_f32_e32 v22, v30, v22
	v_add_f32_e32 v11, v179, v11
	v_mul_f32_e32 v30, 0xbf1a4643, v97
	v_sub_f32_e32 v13, v13, v174
	v_sub_f32_e32 v31, v31, v91
	v_add_f32_e32 v28, v153, v28
	v_add_f32_e32 v10, v11, v10
	v_mul_f32_e32 v11, 0xbf7ba420, v94
	v_add_f32_e32 v12, v13, v12
	v_mul_f32_e32 v13, 0xbf7ba420, v92
	v_add_f32_e32 v30, v98, v30
	v_add_f32_e32 v23, v31, v23
	;; [unrolled: 1-line block ×3, first 2 shown]
	v_mul_f32_e32 v31, 0xbf1a4643, v96
	v_sub_f32_e32 v13, v13, v176
	v_add_f32_e32 v22, v30, v22
	v_mul_f32_e32 v30, 0xbf59a7d5, v100
	v_add_f32_e32 v10, v11, v10
	v_mul_f32_e32 v11, 0x3dbcf732, v97
	;; [unrolled: 2-line block ×3, first 2 shown]
	v_sub_f32_e32 v31, v31, v95
	v_sub_f32_e32 v30, v30, v99
	v_add_f32_e32 v11, v183, v11
	v_add_f32_e32 v22, v32, v22
	v_sub_f32_e32 v13, v13, v178
	v_add_f32_e32 v23, v31, v23
	v_mul_f32_e32 v31, 0xbf7ba420, v105
	v_add_f32_e32 v10, v11, v10
	v_mul_f32_e32 v11, 0x3f6eb680, v102
	v_mul_f32_e32 v32, 0xbf7ba420, v103
	v_add_f32_e32 v7, v7, v14
	v_add_f32_e32 v6, v6, v16
	;; [unrolled: 1-line block ×5, first 2 shown]
	v_mul_f32_e32 v12, 0x3f6eb680, v100
	v_mul_f32_e32 v13, 0xbf1a4643, v105
	v_sub_f32_e32 v12, v12, v180
	v_add_f32_e32 v13, v186, v13
	v_add_f32_e32 v12, v12, v11
	v_mul_f32_e32 v11, 0xbf1a4643, v103
	v_sub_f32_e32 v15, v11, v185
	v_add_f32_e32 v11, v13, v10
	v_mul_f32_e32 v13, 0xbf1a4643, v56
	v_add_f32_e32 v10, v15, v12
	v_mul_f32_e32 v12, 0x3ee437d1, v85
	;; [unrolled: 2-line block ×3, first 2 shown]
	v_add_f32_e32 v12, v138, v12
	v_sub_f32_e32 v15, v15, v127
	v_add_f32_e32 v12, v12, v52
	v_add_f32_e32 v15, v15, v51
	;; [unrolled: 1-line block ×3, first 2 shown]
	v_mul_f32_e32 v13, 0xbf7ba420, v61
	v_add_f32_e32 v13, v144, v13
	v_add_f32_e32 v12, v13, v12
	v_mul_f32_e32 v13, 0xbe8c1d8e, v89
	v_add_f32_e32 v13, v147, v13
	v_add_f32_e32 v12, v13, v12
	v_mul_f32_e32 v13, 0x3f3d2fb0, v94
	v_add_f32_e32 v13, v149, v13
	v_add_f32_e32 v12, v13, v12
	v_mul_f32_e32 v13, 0xbf1a4643, v54
	v_add_f32_e32 v12, v17, v12
	v_sub_f32_e32 v13, v13, v128
	v_mul_f32_e32 v17, 0x3dbcf732, v102
	v_add_f32_e32 v13, v13, v15
	v_mul_f32_e32 v15, 0xbf7ba420, v59
	v_add_f32_e32 v17, v150, v17
	v_sub_f32_e32 v15, v15, v133
	v_add_f32_e32 v12, v17, v12
	v_mul_f32_e32 v17, 0xbf59a7d5, v105
	v_add_f32_e32 v13, v15, v13
	v_mul_f32_e32 v15, 0xbe8c1d8e, v87
	v_add_f32_e32 v17, v154, v17
	v_sub_f32_e32 v15, v15, v136
	v_add_f32_e32 v13, v15, v13
	v_mul_f32_e32 v15, 0x3f3d2fb0, v92
	v_sub_f32_e32 v15, v15, v139
	v_add_f32_e32 v13, v15, v13
	v_mul_f32_e32 v15, 0x3f6eb680, v96
	;; [unrolled: 3-line block ×5, first 2 shown]
	v_add_f32_e32 v12, v18, v15
	v_mul_f32_e32 v15, 0xbf1a4643, v85
	v_sub_f32_e32 v17, v17, v161
	v_mul_f32_e32 v18, 0x3dbcf732, v85
	v_add_f32_e32 v15, v166, v15
	v_add_f32_e32 v17, v17, v51
	;; [unrolled: 1-line block ×6, first 2 shown]
	v_mul_f32_e32 v25, 0x3f3d2fb0, v97
	v_add_f32_e32 v15, v24, v15
	v_mul_f32_e32 v24, 0x3f6eb680, v61
	v_add_f32_e32 v18, v26, v18
	;; [unrolled: 2-line block ×3, first 2 shown]
	v_add_f32_e32 v24, v160, v24
	v_sub_f32_e32 v26, v26, v123
	v_add_f32_e32 v15, v24, v15
	v_mul_f32_e32 v24, 0xbf59a7d5, v89
	v_add_f32_e32 v19, v26, v19
	v_mul_f32_e32 v26, 0xbe8c1d8e, v59
	v_add_f32_e32 v24, v165, v24
	v_sub_f32_e32 v26, v26, v124
	v_add_f32_e32 v15, v24, v15
	v_mul_f32_e32 v24, 0x3dbcf732, v94
	v_add_f32_e32 v19, v26, v19
	v_mul_f32_e32 v26, 0x3f6eb680, v87
	v_add_f32_e32 v24, v167, v24
	v_sub_f32_e32 v26, v26, v125
	v_add_f32_e32 v15, v24, v15
	v_mul_f32_e32 v24, 0x3f6eb680, v59
	v_add_f32_e32 v15, v25, v15
	v_sub_f32_e32 v24, v24, v156
	v_mul_f32_e32 v25, 0xbf7ba420, v102
	v_add_f32_e32 v17, v24, v17
	v_mul_f32_e32 v24, 0xbf59a7d5, v87
	v_add_f32_e32 v25, v170, v25
	v_sub_f32_e32 v24, v24, v157
	v_add_f32_e32 v15, v25, v15
	v_mul_f32_e32 v25, 0xbf7ba420, v100
	v_add_f32_e32 v17, v24, v17
	v_mul_f32_e32 v24, 0x3dbcf732, v92
	v_sub_f32_e32 v25, v25, v163
	v_add_f32_e32 v15, v27, v15
	v_and_b32_e32 v27, 0xffff, v83
	v_sub_f32_e32 v24, v24, v159
	v_add_f32_e32 v17, v24, v17
	v_mul_f32_e32 v24, 0x3f3d2fb0, v96
	v_sub_f32_e32 v24, v24, v162
	v_add_f32_e32 v17, v24, v17
	v_mul_f32_e32 v24, 0xbe8c1d8e, v61
	v_add_f32_e32 v25, v25, v17
	v_add_f32_e32 v24, v132, v24
	;; [unrolled: 1-line block ×3, first 2 shown]
	v_mul_f32_e32 v24, 0x3f6eb680, v89
	v_add_f32_e32 v24, v135, v24
	v_add_f32_e32 v18, v24, v18
	v_mul_f32_e32 v24, 0x3ee437d1, v94
	v_add_f32_e32 v24, v137, v24
	v_add_f32_e32 v18, v24, v18
	v_mul_f32_e32 v24, 0xbf59a7d5, v97
	v_add_f32_e32 v24, v141, v24
	v_add_f32_e32 v17, v24, v18
	v_add_f32_e32 v18, v26, v19
	v_mul_f32_e32 v19, 0x3ee437d1, v92
	v_mul_f32_e32 v24, 0xbf1a4643, v102
	v_mul_f32_e32 v26, 0x3ee437d1, v103
	v_sub_f32_e32 v19, v19, v126
	v_add_f32_e32 v24, v140, v24
	v_sub_f32_e32 v26, v26, v164
	v_add_f32_e32 v18, v19, v18
	v_mul_f32_e32 v19, 0xbf59a7d5, v96
	v_add_f32_e32 v17, v24, v17
	v_mul_f32_e32 v24, 0x3dbcf732, v56
	v_add_f32_e32 v14, v26, v25
	v_sub_f32_e32 v19, v19, v129
	v_add_f32_e32 v17, v28, v17
	v_add_f32_e32 v24, v111, v24
	v_add_f32_e32 v18, v19, v18
	v_mul_f32_e32 v19, 0xbf1a4643, v100
	v_sub_f32_e32 v19, v19, v131
	v_add_f32_e32 v29, v19, v18
	v_add_f32_e32 v18, v24, v20
	v_mul_f32_e32 v19, 0xbf1a4643, v61
	v_mul_f32_e32 v20, 0x3dbcf732, v54
	;; [unrolled: 1-line block ×3, first 2 shown]
	v_add_f32_e32 v19, v113, v19
	v_sub_f32_e32 v20, v20, v107
	v_sub_f32_e32 v24, v24, v134
	v_add_f32_e32 v18, v19, v18
	v_mul_f32_e32 v19, 0xbf7ba420, v89
	v_add_f32_e32 v20, v20, v21
	v_mul_f32_e32 v21, 0xbf1a4643, v59
	v_add_f32_e32 v16, v24, v29
	v_add_f32_e32 v19, v115, v19
	v_sub_f32_e32 v21, v21, v108
	v_add_f32_e32 v18, v19, v18
	v_mul_f32_e32 v19, 0xbf59a7d5, v94
	v_add_f32_e32 v20, v21, v20
	v_mul_f32_e32 v21, 0xbf7ba420, v87
	v_add_f32_e32 v19, v117, v19
	v_sub_f32_e32 v21, v21, v109
	v_add_f32_e32 v18, v19, v18
	v_mul_f32_e32 v19, 0xbe8c1d8e, v97
	v_add_f32_e32 v20, v21, v20
	v_mul_f32_e32 v21, 0xbf59a7d5, v92
	;; [unrolled: 6-line block ×3, first 2 shown]
	v_add_f32_e32 v19, v119, v19
	v_sub_f32_e32 v21, v21, v114
	v_add_f32_e32 v18, v19, v18
	v_add_f32_e32 v19, v21, v20
	v_mul_f32_e32 v20, 0x3ee437d1, v100
	v_mul_f32_e32 v21, 0x3f6eb680, v105
	v_sub_f32_e32 v20, v20, v116
	v_add_f32_e32 v21, v120, v21
	v_add_f32_e32 v20, v20, v19
	;; [unrolled: 1-line block ×5, first 2 shown]
	v_sub_f32_e32 v23, v32, v104
	v_add_f32_e32 v5, v18, v22
	v_add_f32_e32 v18, v33, v20
	;; [unrolled: 1-line block ×3, first 2 shown]
	v_add_lshl_u32 v21, v53, v27, 3
	ds_write2_b64 v21, v[6:7], v[4:5] offset1:1
	ds_write2_b64 v21, v[18:19], v[12:13] offset0:2 offset1:3
	ds_write2_b64 v21, v[16:17], v[10:11] offset0:4 offset1:5
	;; [unrolled: 1-line block ×7, first 2 shown]
	ds_write_b64 v21, v[2:3] offset:128
.LBB0_7:
	s_or_b32 exec_lo, exec_lo, s4
	v_mad_u64_u32 v[16:17], null, v80, 56, s[2:3]
	s_load_dwordx4 s[0:3], s[0:1], 0x0
	s_waitcnt lgkmcnt(0)
	s_barrier
	buffer_gl0_inv
	v_add_lshl_u32 v85, v53, v80, 3
	v_lshl_add_u32 v84, v80, 3, v82
	s_clause 0x3
	global_load_dwordx4 v[12:15], v[16:17], off
	global_load_dwordx4 v[8:11], v[16:17], off offset:16
	global_load_dwordx4 v[4:7], v[16:17], off offset:32
	global_load_dwordx2 v[32:33], v[16:17], off offset:48
	ds_read2_b64 v[16:19], v85 offset1:17
	ds_read2_b64 v[20:23], v85 offset0:34 offset1:51
	ds_read2_b64 v[24:27], v85 offset0:68 offset1:85
	;; [unrolled: 1-line block ×3, first 2 shown]
	s_waitcnt vmcnt(3) lgkmcnt(3)
	v_mul_f32_e32 v34, v19, v13
	v_mul_f32_e32 v35, v18, v13
	s_waitcnt lgkmcnt(2)
	v_mul_f32_e32 v51, v21, v15
	v_mul_f32_e32 v52, v20, v15
	s_waitcnt vmcnt(2)
	v_mul_f32_e32 v53, v23, v9
	v_mul_f32_e32 v54, v22, v9
	s_waitcnt lgkmcnt(1)
	v_mul_f32_e32 v55, v25, v11
	v_mul_f32_e32 v56, v24, v11
	s_waitcnt vmcnt(1)
	;; [unrolled: 6-line block ×3, first 2 shown]
	v_mul_f32_e32 v61, v31, v33
	v_mul_f32_e32 v62, v30, v33
	v_fma_f32 v18, v18, v12, -v34
	v_fmac_f32_e32 v35, v19, v12
	v_fma_f32 v19, v20, v14, -v51
	v_fmac_f32_e32 v52, v21, v14
	;; [unrolled: 2-line block ×7, first 2 shown]
	v_sub_f32_e32 v21, v16, v21
	v_sub_f32_e32 v25, v17, v56
	;; [unrolled: 1-line block ×8, first 2 shown]
	v_fma_f32 v29, v16, 2.0, -v21
	v_fma_f32 v30, v17, 2.0, -v25
	;; [unrolled: 1-line block ×8, first 2 shown]
	v_sub_f32_e32 v34, v21, v26
	v_add_f32_e32 v35, v25, v23
	v_sub_f32_e32 v26, v22, v28
	v_add_f32_e32 v24, v27, v24
	v_sub_f32_e32 v28, v29, v16
	v_sub_f32_e32 v51, v30, v17
	v_fma_f32 v52, v21, 2.0, -v34
	v_fma_f32 v53, v25, 2.0, -v35
	v_sub_f32_e32 v23, v18, v20
	v_sub_f32_e32 v25, v19, v31
	v_fma_f32 v31, v22, 2.0, -v26
	v_fma_f32 v54, v27, 2.0, -v24
	v_fmamk_f32 v16, v26, 0x3f3504f3, v34
	v_fmamk_f32 v17, v24, 0x3f3504f3, v35
	v_fma_f32 v29, v29, 2.0, -v28
	v_fma_f32 v55, v30, 2.0, -v51
	;; [unrolled: 1-line block ×4, first 2 shown]
	v_fmamk_f32 v20, v31, 0xbf3504f3, v52
	v_fmamk_f32 v21, v54, 0xbf3504f3, v53
	v_sub_f32_e32 v22, v28, v25
	v_add_f32_e32 v23, v51, v23
	v_fmac_f32_e32 v16, 0xbf3504f3, v24
	v_fmac_f32_e32 v17, 0x3f3504f3, v26
	v_sub_f32_e32 v26, v29, v18
	v_sub_f32_e32 v27, v55, v19
	v_fmac_f32_e32 v20, 0xbf3504f3, v54
	v_fmac_f32_e32 v21, 0x3f3504f3, v31
	v_fma_f32 v30, v28, 2.0, -v22
	v_fma_f32 v31, v51, 2.0, -v23
	;; [unrolled: 1-line block ×8, first 2 shown]
	ds_write2_b64 v84, v[22:23], v[16:17] offset0:102 offset1:119
	ds_write2_b64 v84, v[30:31], v[24:25] offset0:34 offset1:51
	;; [unrolled: 1-line block ×3, first 2 shown]
	ds_write2_b64 v84, v[34:35], v[28:29] offset1:17
	s_waitcnt lgkmcnt(0)
	s_barrier
	buffer_gl0_inv
	s_and_saveexec_b32 s8, vcc_lo
	s_cbranch_execz .LBB0_9
; %bb.8:
	global_load_dwordx2 v[18:19], v63, s[6:7] offset:1088
	s_add_u32 s4, s6, 0x440
	s_addc_u32 s5, s7, 0
	s_clause 0xf
	global_load_dwordx2 v[106:107], v63, s[4:5] offset:64
	global_load_dwordx2 v[108:109], v63, s[4:5] offset:128
	;; [unrolled: 1-line block ×16, first 2 shown]
	ds_read_b64 v[51:52], v81
	s_waitcnt vmcnt(16) lgkmcnt(0)
	v_mul_f32_e32 v53, v52, v19
	v_mul_f32_e32 v54, v51, v19
	v_fma_f32 v53, v51, v18, -v53
	v_fmac_f32_e32 v54, v52, v18
	ds_write_b64 v81, v[53:54]
	ds_read2_b64 v[51:54], v84 offset0:8 offset1:16
	ds_read2_b64 v[55:58], v84 offset0:24 offset1:32
	;; [unrolled: 1-line block ×8, first 2 shown]
	s_waitcnt vmcnt(15) lgkmcnt(7)
	v_mul_f32_e32 v18, v52, v107
	v_mul_f32_e32 v19, v51, v107
	s_waitcnt vmcnt(14)
	v_mul_f32_e32 v138, v54, v109
	v_mul_f32_e32 v107, v53, v109
	s_waitcnt vmcnt(13) lgkmcnt(6)
	v_mul_f32_e32 v139, v56, v111
	v_mul_f32_e32 v109, v55, v111
	s_waitcnt vmcnt(12)
	v_mul_f32_e32 v140, v58, v113
	v_mul_f32_e32 v111, v57, v113
	s_waitcnt vmcnt(11) lgkmcnt(5)
	v_mul_f32_e32 v141, v60, v115
	v_mul_f32_e32 v113, v59, v115
	s_waitcnt vmcnt(10)
	v_mul_f32_e32 v142, v62, v117
	v_mul_f32_e32 v115, v61, v117
	s_waitcnt vmcnt(9) lgkmcnt(4)
	v_mul_f32_e32 v143, v87, v119
	v_mul_f32_e32 v117, v86, v119
	s_waitcnt vmcnt(8)
	v_mul_f32_e32 v144, v89, v121
	v_mul_f32_e32 v119, v88, v121
	s_waitcnt vmcnt(7) lgkmcnt(3)
	v_mul_f32_e32 v145, v91, v123
	v_mul_f32_e32 v121, v90, v123
	s_waitcnt vmcnt(6)
	v_mul_f32_e32 v146, v93, v125
	v_mul_f32_e32 v123, v92, v125
	s_waitcnt vmcnt(5) lgkmcnt(2)
	v_mul_f32_e32 v147, v95, v127
	v_mul_f32_e32 v125, v94, v127
	s_waitcnt vmcnt(4)
	v_mul_f32_e32 v148, v97, v129
	v_mul_f32_e32 v127, v96, v129
	s_waitcnt vmcnt(3) lgkmcnt(1)
	v_mul_f32_e32 v149, v99, v131
	v_mul_f32_e32 v129, v98, v131
	s_waitcnt vmcnt(2)
	v_mul_f32_e32 v150, v101, v133
	v_mul_f32_e32 v131, v100, v133
	s_waitcnt vmcnt(1) lgkmcnt(0)
	v_mul_f32_e32 v151, v103, v135
	v_mul_f32_e32 v133, v102, v135
	s_waitcnt vmcnt(0)
	v_mul_f32_e32 v152, v105, v137
	v_mul_f32_e32 v135, v104, v137
	v_fma_f32 v18, v51, v106, -v18
	v_fmac_f32_e32 v19, v52, v106
	v_fma_f32 v106, v53, v108, -v138
	v_fmac_f32_e32 v107, v54, v108
	;; [unrolled: 2-line block ×16, first 2 shown]
	ds_write2_b64 v84, v[18:19], v[106:107] offset0:8 offset1:16
	ds_write2_b64 v84, v[108:109], v[110:111] offset0:24 offset1:32
	;; [unrolled: 1-line block ×8, first 2 shown]
.LBB0_9:
	s_or_b32 exec_lo, exec_lo, s8
	s_waitcnt lgkmcnt(0)
	s_barrier
	buffer_gl0_inv
	s_and_saveexec_b32 s4, vcc_lo
	s_cbranch_execz .LBB0_11
; %bb.10:
	ds_read2_b64 v[37:40], v84 offset0:88 offset1:96
	ds_read2_b64 v[47:50], v84 offset0:72 offset1:80
	ds_read2_b64 v[51:54], v84 offset0:104 offset1:112
	ds_read2_b64 v[0:3], v84 offset0:120 offset1:128
	ds_read2_b64 v[16:19], v84 offset0:56 offset1:64
	ds_read_b64 v[34:35], v81
	ds_read2_b64 v[28:31], v84 offset0:8 offset1:16
	ds_read2_b64 v[24:27], v84 offset0:24 offset1:32
	ds_read2_b64 v[20:23], v84 offset0:40 offset1:48
	s_waitcnt lgkmcnt(8)
	v_mov_b32_e32 v44, v38
	v_mov_b32_e32 v43, v37
	s_waitcnt lgkmcnt(7)
	v_mov_b32_e32 v46, v50
	v_mov_b32_e32 v45, v49
	v_mov_b32_e32 v41, v39
	v_mov_b32_e32 v42, v40
	s_waitcnt lgkmcnt(6)
	v_mov_b32_e32 v39, v51
	v_mov_b32_e32 v40, v52
	v_mov_b32_e32 v37, v53
	v_mov_b32_e32 v38, v54
	s_waitcnt lgkmcnt(4)
	v_mov_b32_e32 v49, v18
	v_mov_b32_e32 v50, v19
.LBB0_11:
	s_or_b32 exec_lo, exec_lo, s4
	s_waitcnt lgkmcnt(0)
	s_barrier
	buffer_gl0_inv
	s_and_saveexec_b32 s4, vcc_lo
	s_cbranch_execz .LBB0_13
; %bb.12:
	v_add_f32_e32 v62, v3, v29
	v_sub_f32_e32 v91, v28, v2
	v_add_f32_e32 v205, v1, v31
	v_sub_f32_e32 v87, v30, v0
	v_add_f32_e32 v203, v38, v25
	v_mul_f32_e32 v105, 0xbf7ba420, v62
	v_sub_f32_e32 v88, v24, v37
	v_mul_f32_e32 v107, 0x3f6eb680, v205
	v_add_f32_e32 v198, v40, v27
	v_mul_f32_e32 v108, 0xbf59a7d5, v203
	v_fmamk_f32 v18, v91, 0x3e3c28d5, v105
	v_sub_f32_e32 v86, v26, v39
	v_fmamk_f32 v19, v87, 0xbeb8f4ab, v107
	v_add_f32_e32 v199, v42, v21
	v_mul_f32_e32 v109, 0x3f3d2fb0, v198
	v_add_f32_e32 v18, v35, v18
	v_fmamk_f32 v51, v88, 0x3f06c442, v108
	v_sub_f32_e32 v165, v29, v3
	v_sub_f32_e32 v89, v20, v41
	v_add_f32_e32 v61, v44, v23
	v_add_f32_e32 v18, v19, v18
	;; [unrolled: 1-line block ×3, first 2 shown]
	v_mul_f32_e32 v114, 0xbf1a4643, v199
	v_fmamk_f32 v19, v86, 0xbf2c7751, v109
	v_sub_f32_e32 v166, v31, v1
	v_add_f32_e32 v18, v51, v18
	v_mul_f32_e32 v113, 0xbe3c28d5, v165
	v_sub_f32_e32 v90, v22, v43
	v_mul_f32_e32 v111, 0x3ee437d1, v61
	v_fmamk_f32 v51, v89, 0x3f4c4adb, v114
	v_add_f32_e32 v18, v19, v18
	v_add_f32_e32 v94, v0, v30
	v_mul_f32_e32 v112, 0x3eb8f4ab, v166
	v_fmamk_f32 v52, v93, 0xbf7ba420, v113
	v_sub_f32_e32 v178, v25, v38
	v_fmamk_f32 v19, v90, 0xbf65296c, v111
	v_add_f32_e32 v18, v51, v18
	v_fmamk_f32 v51, v94, 0x3f6eb680, v112
	v_add_f32_e32 v52, v34, v52
	v_add_f32_e32 v96, v37, v24
	v_mul_f32_e32 v106, 0xbf06c442, v178
	v_sub_f32_e32 v185, v27, v40
	v_add_f32_e32 v188, v46, v17
	v_add_f32_e32 v18, v19, v18
	;; [unrolled: 1-line block ×3, first 2 shown]
	v_fmamk_f32 v51, v96, 0xbf59a7d5, v106
	v_add_f32_e32 v97, v39, v26
	v_mul_f32_e32 v102, 0x3f2c7751, v185
	v_sub_f32_e32 v186, v21, v42
	v_mul_f32_e32 v110, 0xbe8c1d8e, v188
	v_sub_f32_e32 v92, v16, v45
	v_add_f32_e32 v191, v48, v50
	v_add_f32_e32 v19, v51, v19
	v_fmamk_f32 v51, v97, 0x3f3d2fb0, v102
	v_add_f32_e32 v98, v41, v20
	v_mul_f32_e32 v103, 0xbf4c4adb, v186
	v_sub_f32_e32 v182, v23, v44
	v_fmamk_f32 v52, v92, 0x3f763a35, v110
	v_mul_f32_e32 v117, 0x3dbcf732, v191
	v_sub_f32_e32 v95, v49, v47
	v_add_f32_e32 v19, v51, v19
	v_fmamk_f32 v51, v98, 0xbf1a4643, v103
	v_add_f32_e32 v99, v43, v22
	v_mul_f32_e32 v104, 0x3f65296c, v182
	v_mul_f32_e32 v132, 0xbf59a7d5, v62
	v_add_f32_e32 v18, v52, v18
	v_fmamk_f32 v52, v95, 0xbf7ee86f, v117
	v_add_f32_e32 v51, v51, v19
	v_fmamk_f32 v53, v99, 0x3ee437d1, v104
	v_fmamk_f32 v54, v91, 0x3f06c442, v132
	v_mul_f32_e32 v118, 0x3ee437d1, v205
	v_add_f32_e32 v19, v52, v18
	v_sub_f32_e32 v189, v17, v46
	v_add_f32_e32 v18, v53, v51
	v_add_f32_e32 v51, v35, v54
	v_fmamk_f32 v52, v87, 0xbf65296c, v118
	v_mul_f32_e32 v119, 0x3dbcf732, v203
	v_add_f32_e32 v101, v45, v16
	v_mul_f32_e32 v115, 0xbf763a35, v189
	v_sub_f32_e32 v190, v50, v48
	v_add_f32_e32 v51, v52, v51
	v_fmamk_f32 v52, v88, 0x3f7ee86f, v119
	v_mul_f32_e32 v123, 0xbf1a4643, v198
	v_fmamk_f32 v53, v101, 0xbe8c1d8e, v115
	v_add_f32_e32 v100, v47, v49
	v_mul_f32_e32 v116, 0x3f7ee86f, v190
	v_add_f32_e32 v51, v52, v51
	v_fmamk_f32 v52, v86, 0xbf4c4adb, v123
	v_mul_f32_e32 v124, 0x3f6eb680, v199
	v_add_f32_e32 v18, v53, v18
	v_fmamk_f32 v53, v100, 0x3dbcf732, v116
	;; [unrolled: 3-line block ×93, first 2 shown]
	v_mul_f32_e32 v219, 0x3ee437d1, v203
	v_add_f32_e32 v29, v29, v35
	v_add_f32_e32 v229, v229, v220
	v_fmamk_f32 v232, v99, 0xbe8c1d8e, v205
	v_mul_f32_e32 v203, 0x3f65296c, v189
	v_add_f32_e32 v230, v231, v230
	v_fmamk_f32 v231, v88, 0x3f65296c, v219
	v_mul_f32_e32 v220, 0x3dbcf732, v198
	v_add_f32_e32 v29, v31, v29
	v_add_f32_e32 v31, v28, v34
	;; [unrolled: 1-line block ×3, first 2 shown]
	v_fmamk_f32 v232, v101, 0x3ee437d1, v203
	v_mul_f32_e32 v198, 0x3eb8f4ab, v190
	v_add_f32_e32 v230, v231, v230
	v_fmamk_f32 v231, v86, 0x3f7ee86f, v220
	v_mul_f32_e32 v199, 0xbe8c1d8e, v199
	v_add_f32_e32 v29, v25, v29
	v_add_f32_e32 v30, v30, v31
	v_add_f32_e32 v229, v232, v229
	v_fmamk_f32 v232, v100, 0x3f6eb680, v198
	v_add_f32_e32 v230, v231, v230
	v_fmamk_f32 v231, v89, 0x3f763a35, v199
	v_mul_f32_e32 v28, 0xbf1a4643, v61
	v_add_f32_e32 v27, v27, v29
	v_add_f32_e32 v24, v24, v30
	;; [unrolled: 1-line block ×4, first 2 shown]
	v_fmamk_f32 v31, v90, 0x3f4c4adb, v28
	v_mul_f32_e32 v165, 0xbeb8f4ab, v165
	v_add_f32_e32 v21, v21, v27
	v_add_f32_e32 v24, v26, v24
	v_mul_f32_e32 v166, 0xbf2c7751, v166
	v_add_f32_e32 v29, v31, v229
	v_fmamk_f32 v31, v93, 0x3f6eb680, v165
	v_add_f32_e32 v21, v23, v21
	v_add_f32_e32 v23, v20, v24
	v_mul_f32_e32 v25, 0xbf59a7d5, v188
	v_fmamk_f32 v24, v94, 0x3f3d2fb0, v166
	v_add_f32_e32 v27, v34, v31
	v_mul_f32_e32 v31, 0xbf65296c, v178
	v_add_f32_e32 v17, v17, v21
	v_add_f32_e32 v21, v22, v23
	v_fmamk_f32 v30, v92, 0x3f06c442, v25
	v_mul_f32_e32 v20, 0xbf7ba420, v191
	v_add_f32_e32 v22, v24, v27
	v_fmamk_f32 v23, v96, 0x3ee437d1, v31
	v_mul_f32_e32 v178, 0xbf7ee86f, v185
	v_add_f32_e32 v17, v50, v17
	v_add_f32_e32 v16, v16, v21
	;; [unrolled: 1-line block ×3, first 2 shown]
	v_fmamk_f32 v21, v95, 0x3e3c28d5, v20
	v_add_f32_e32 v22, v23, v22
	v_fmamk_f32 v23, v97, 0x3dbcf732, v178
	v_add_f32_e32 v24, v48, v17
	v_add_f32_e32 v16, v49, v16
	;; [unrolled: 1-line block ×3, first 2 shown]
	v_mul_f32_e32 v48, 0xbf763a35, v186
	v_add_f32_e32 v21, v23, v22
	v_add_f32_e32 v22, v46, v24
	;; [unrolled: 1-line block ×3, first 2 shown]
	v_fmac_f32_e32 v105, 0xbe3c28d5, v91
	v_fmamk_f32 v23, v98, 0xbe8c1d8e, v48
	v_mul_f32_e32 v46, 0xbf4c4adb, v182
	v_add_f32_e32 v22, v44, v22
	v_add_f32_e32 v16, v45, v16
	;; [unrolled: 1-line block ×3, first 2 shown]
	v_fmac_f32_e32 v107, 0x3eb8f4ab, v87
	v_add_f32_e32 v21, v23, v21
	v_fmamk_f32 v23, v99, 0xbf1a4643, v46
	v_add_f32_e32 v22, v42, v22
	v_add_f32_e32 v16, v43, v16
	;; [unrolled: 1-line block ×3, first 2 shown]
	v_fmac_f32_e32 v108, 0xbf06c442, v88
	v_add_f32_e32 v21, v23, v21
	v_mul_f32_e32 v42, 0xbf06c442, v189
	v_add_f32_e32 v22, v40, v22
	v_add_f32_e32 v16, v41, v16
	;; [unrolled: 1-line block ×3, first 2 shown]
	v_fmac_f32_e32 v109, 0x3f2c7751, v86
	v_fmamk_f32 v24, v101, 0xbf59a7d5, v42
	v_mul_f32_e32 v40, 0xbe3c28d5, v190
	v_add_f32_e32 v22, v38, v22
	v_add_f32_e32 v16, v39, v16
	;; [unrolled: 1-line block ×3, first 2 shown]
	v_fmac_f32_e32 v114, 0xbf4c4adb, v89
	v_add_f32_e32 v21, v24, v21
	v_fmamk_f32 v24, v100, 0xbf7ba420, v40
	v_add_f32_e32 v1, v1, v22
	v_add_f32_e32 v22, v37, v16
	;; [unrolled: 1-line block ×3, first 2 shown]
	v_fmac_f32_e32 v111, 0x3f65296c, v90
	v_add_f32_e32 v16, v24, v21
	v_fma_f32 v21, 0xbf7ba420, v93, -v113
	v_add_f32_e32 v1, v3, v1
	v_add_f32_e32 v0, v0, v22
	;; [unrolled: 1-line block ×3, first 2 shown]
	v_fmac_f32_e32 v110, 0xbf763a35, v92
	v_add_f32_e32 v21, v34, v21
	v_fma_f32 v22, 0x3f6eb680, v94, -v112
	v_add_f32_e32 v0, v2, v0
	v_fmac_f32_e32 v132, 0xbf06c442, v91
	v_add_f32_e32 v2, v110, v3
	v_fmac_f32_e32 v117, 0x3f7ee86f, v95
	v_add_f32_e32 v21, v22, v21
	v_fma_f32 v22, 0xbf59a7d5, v96, -v106
	v_add_f32_e32 v23, v35, v132
	v_fmac_f32_e32 v118, 0x3f65296c, v87
	v_add_f32_e32 v3, v117, v2
	v_fma_f32 v2, 0xbf59a7d5, v93, -v136
	v_add_f32_e32 v21, v22, v21
	v_fma_f32 v22, 0x3f3d2fb0, v97, -v102
	v_add_f32_e32 v23, v118, v23
	v_fmac_f32_e32 v119, 0xbf7ee86f, v88
	v_add_f32_e32 v2, v34, v2
	v_fma_f32 v24, 0x3ee437d1, v94, -v137
	;; [unrolled: 6-line block ×6, first 2 shown]
	v_fmac_f32_e32 v134, 0xbf4c4adb, v91
	v_add_f32_e32 v2, v22, v21
	v_add_f32_e32 v21, v125, v23
	v_fmac_f32_e32 v126, 0xbf763a35, v95
	v_add_f32_e32 v23, v26, v24
	v_fma_f32 v24, 0x3f3d2fb0, v101, -v146
	v_add_f32_e32 v26, v35, v134
	v_fmac_f32_e32 v131, 0x3f763a35, v87
	v_add_f32_e32 v22, v126, v21
	v_fma_f32 v21, 0xbf1a4643, v93, -v148
	v_add_f32_e32 v23, v24, v23
	v_fma_f32 v24, 0xbe8c1d8e, v100, -v133
	v_add_f32_e32 v26, v131, v26
	v_fmac_f32_e32 v120, 0xbeb8f4ab, v88
	v_add_f32_e32 v27, v34, v21
	v_fma_f32 v29, 0xbe8c1d8e, v94, -v150
	v_add_f32_e32 v21, v24, v23
	v_fmac_f32_e32 v168, 0xbf763a35, v91
	v_add_f32_e32 v23, v120, v26
	v_fmac_f32_e32 v121, 0xbf06c442, v86
	v_add_f32_e32 v24, v29, v27
	v_fma_f32 v26, 0x3f6eb680, v96, -v139
	v_add_f32_e32 v27, v35, v168
	v_fmac_f32_e32 v169, 0x3f06c442, v87
	;; [unrolled: 6-line block ×6, first 2 shown]
	v_add_f32_e32 v24, v129, v23
	v_fma_f32 v23, 0xbe8c1d8e, v93, -v173
	v_add_f32_e32 v26, v29, v26
	v_fma_f32 v29, 0x3ee437d1, v100, -v142
	v_add_f32_e32 v27, v174, v27
	v_fmac_f32_e32 v154, 0xbeb8f4ab, v92
	v_add_f32_e32 v30, v34, v23
	v_fma_f32 v37, 0xbf59a7d5, v94, -v175
	v_fmac_f32_e32 v187, 0xbf7ee86f, v91
	v_add_f32_e32 v23, v29, v26
	v_add_f32_e32 v26, v154, v27
	v_fmac_f32_e32 v155, 0xbf4c4adb, v95
	v_add_f32_e32 v29, v37, v30
	v_fma_f32 v30, 0x3f3d2fb0, v96, -v156
	v_add_f32_e32 v37, v35, v187
	v_fmac_f32_e32 v159, 0xbe3c28d5, v87
	v_add_f32_e32 v27, v155, v26
	v_fma_f32 v26, 0x3dbcf732, v93, -v196
	v_add_f32_e32 v29, v30, v29
	v_fma_f32 v30, 0x3ee437d1, v97, -v135
	v_add_f32_e32 v37, v159, v37
	v_fmac_f32_e32 v160, 0x3f763a35, v88
	v_add_f32_e32 v26, v34, v26
	v_fma_f32 v38, 0xbf7ba420, v94, -v197
	v_add_f32_e32 v29, v30, v29
	v_fma_f32 v30, 0xbf7ba420, v98, -v144
	v_add_f32_e32 v37, v160, v37
	v_fmac_f32_e32 v164, 0x3eb8f4ab, v86
	v_add_f32_e32 v26, v38, v26
	v_fma_f32 v38, 0xbe8c1d8e, v96, -v200
	v_add_f32_e32 v29, v30, v29
	v_fma_f32 v30, 0x3dbcf732, v99, -v145
	v_add_f32_e32 v37, v164, v37
	v_fmac_f32_e32 v167, 0xbf65296c, v89
	v_add_f32_e32 v26, v38, v26
	v_fma_f32 v38, 0x3f6eb680, v97, -v204
	v_add_f32_e32 v29, v30, v29
	v_fma_f32 v30, 0x3f6eb680, v101, -v147
	v_add_f32_e32 v37, v167, v37
	v_fmac_f32_e32 v183, 0xbf06c442, v90
	v_add_f32_e32 v26, v38, v26
	v_fma_f32 v38, 0x3ee437d1, v98, -v215
	v_add_f32_e32 v29, v30, v29
	v_fma_f32 v30, 0xbf1a4643, v100, -v149
	v_add_f32_e32 v37, v183, v37
	v_fmac_f32_e32 v176, 0x3f4c4adb, v92
	v_add_f32_e32 v38, v38, v26
	v_fma_f32 v39, 0xbf59a7d5, v99, -v217
	v_add_f32_e32 v26, v30, v29
	v_fmac_f32_e32 v195, 0xbf65296c, v91
	v_add_f32_e32 v29, v176, v37
	v_fmac_f32_e32 v177, 0x3f2c7751, v95
	v_add_f32_e32 v37, v39, v38
	v_fma_f32 v38, 0xbf1a4643, v101, -v208
	v_add_f32_e32 v39, v35, v195
	v_fmac_f32_e32 v184, 0xbf4c4adb, v87
	v_add_f32_e32 v30, v177, v29
	v_fma_f32 v29, 0x3ee437d1, v93, -v209
	v_add_f32_e32 v37, v38, v37
	v_fma_f32 v38, 0x3f3d2fb0, v100, -v192
	v_add_f32_e32 v39, v184, v39
	v_fmac_f32_e32 v161, 0x3e3c28d5, v88
	v_add_f32_e32 v41, v34, v29
	v_fma_f32 v43, 0xbf1a4643, v94, -v210
	v_fmac_f32_e32 v221, 0xbf2c7751, v91
	v_add_f32_e32 v29, v38, v37
	v_add_f32_e32 v37, v161, v39
	v_fmac_f32_e32 v162, 0x3f763a35, v86
	v_add_f32_e32 v38, v43, v41
	v_fma_f32 v39, 0xbf7ba420, v96, -v201
	v_add_f32_e32 v41, v35, v221
	v_fmac_f32_e32 v222, 0xbf7ee86f, v87
	v_add_f32_e32 v37, v162, v37
	v_fmac_f32_e32 v163, 0x3f2c7751, v89
	v_add_f32_e32 v38, v39, v38
	v_fma_f32 v39, 0xbe8c1d8e, v97, -v202
	v_add_f32_e32 v41, v222, v41
	v_fmac_f32_e32 v223, 0xbf4c4adb, v88
	;; [unrolled: 6-line block ×5, first 2 shown]
	v_add_f32_e32 v38, v181, v37
	v_fma_f32 v37, 0x3f3d2fb0, v93, -v226
	v_add_f32_e32 v39, v43, v39
	v_fma_f32 v43, 0xbf59a7d5, v100, -v206
	v_add_f32_e32 v41, v227, v41
	v_fmac_f32_e32 v214, 0x3f65296c, v92
	v_add_f32_e32 v44, v34, v37
	v_fmac_f32_e32 v216, 0xbeb8f4ab, v91
	v_add_f32_e32 v37, v43, v39
	v_fma_f32 v45, 0x3dbcf732, v94, -v228
	v_add_f32_e32 v39, v214, v41
	v_fma_f32 v41, 0x3f6eb680, v93, -v165
	v_add_f32_e32 v35, v35, v216
	v_fmac_f32_e32 v218, 0xbf2c7751, v87
	v_add_f32_e32 v43, v45, v44
	v_fma_f32 v44, 0xbf1a4643, v96, -v193
	v_add_f32_e32 v34, v34, v41
	v_fma_f32 v41, 0x3f3d2fb0, v94, -v166
	v_add_f32_e32 v35, v218, v35
	v_fmac_f32_e32 v219, 0xbf65296c, v88
	v_fma_f32 v31, 0x3ee437d1, v96, -v31
	v_add_f32_e32 v43, v44, v43
	v_add_f32_e32 v34, v41, v34
	v_fma_f32 v44, 0xbf7ba420, v97, -v194
	v_add_f32_e32 v35, v219, v35
	v_fmac_f32_e32 v220, 0xbf7ee86f, v86
	v_fmac_f32_e32 v199, 0xbf763a35, v89
	v_add_f32_e32 v31, v31, v34
	v_fma_f32 v34, 0x3dbcf732, v97, -v178
	v_add_f32_e32 v41, v44, v43
	v_fma_f32 v43, 0xbf59a7d5, v98, -v207
	v_add_f32_e32 v35, v220, v35
	v_fmac_f32_e32 v28, 0xbf4c4adb, v90
	v_add_f32_e32 v31, v34, v31
	v_fma_f32 v34, 0xbe8c1d8e, v98, -v48
	v_add_f32_e32 v41, v43, v41
	v_fma_f32 v43, 0xbe8c1d8e, v99, -v205
	v_add_f32_e32 v35, v199, v35
	v_fmac_f32_e32 v25, 0xbf06c442, v92
	v_add_f32_e32 v31, v34, v31
	v_fma_f32 v34, 0xbf1a4643, v99, -v46
	v_add_f32_e32 v41, v43, v41
	v_fma_f32 v43, 0x3ee437d1, v101, -v203
	v_add_f32_e32 v28, v28, v35
	v_and_b32_e32 v35, 0xffff, v83
	v_add_f32_e32 v31, v34, v31
	v_fma_f32 v34, 0xbf59a7d5, v101, -v42
	v_fmac_f32_e32 v143, 0x3eb8f4ab, v95
	v_add_f32_e32 v41, v43, v41
	v_fma_f32 v42, 0x3f6eb680, v100, -v198
	v_add_f32_e32 v25, v25, v28
	v_fmac_f32_e32 v20, 0xbe3c28d5, v95
	v_add_f32_e32 v28, v34, v31
	v_fma_f32 v31, 0xbf7ba420, v100, -v40
	v_lshl_add_u32 v43, v35, 3, v82
	v_add_f32_e32 v35, v143, v39
	v_add_f32_e32 v34, v42, v41
	;; [unrolled: 1-line block ×4, first 2 shown]
	ds_write2_b64 v43, v[0:1], v[16:17] offset1:1
	ds_write2_b64 v43, v[61:62], v[59:60] offset0:2 offset1:3
	ds_write2_b64 v43, v[57:58], v[55:56] offset0:4 offset1:5
	;; [unrolled: 1-line block ×7, first 2 shown]
	ds_write_b64 v43, v[39:40] offset:128
.LBB0_13:
	s_or_b32 exec_lo, exec_lo, s4
	s_waitcnt lgkmcnt(0)
	s_barrier
	buffer_gl0_inv
	ds_read2_b64 v[0:3], v85 offset1:17
	ds_read2_b64 v[16:19], v85 offset0:34 offset1:51
	ds_read2_b64 v[20:23], v85 offset0:68 offset1:85
	;; [unrolled: 1-line block ×3, first 2 shown]
	s_waitcnt lgkmcnt(3)
	v_mul_f32_e32 v28, v13, v3
	v_mul_f32_e32 v13, v13, v2
	s_waitcnt lgkmcnt(1)
	v_mul_f32_e32 v34, v5, v23
	v_mul_f32_e32 v5, v5, v22
	v_mul_f32_e32 v29, v15, v17
	v_mul_f32_e32 v15, v15, v16
	v_mul_f32_e32 v30, v9, v19
	v_mul_f32_e32 v9, v9, v18
	v_mul_f32_e32 v31, v11, v21
	v_mul_f32_e32 v11, v11, v20
	v_fmac_f32_e32 v34, v4, v22
	v_fma_f32 v4, v4, v23, -v5
	s_waitcnt lgkmcnt(0)
	v_mul_f32_e32 v5, v7, v24
	v_fmac_f32_e32 v28, v12, v2
	v_fma_f32 v2, v12, v3, -v13
	v_fma_f32 v3, v14, v17, -v15
	v_fmac_f32_e32 v30, v8, v18
	v_fma_f32 v8, v8, v19, -v9
	v_fmac_f32_e32 v31, v10, v20
	v_fma_f32 v9, v10, v21, -v11
	v_mul_f32_e32 v10, v7, v25
	v_mul_f32_e32 v7, v33, v27
	;; [unrolled: 1-line block ×3, first 2 shown]
	v_fma_f32 v5, v6, v25, -v5
	v_fmac_f32_e32 v29, v14, v16
	v_fmac_f32_e32 v10, v6, v24
	;; [unrolled: 1-line block ×3, first 2 shown]
	v_fma_f32 v6, v32, v27, -v11
	v_sub_f32_e32 v9, v1, v9
	v_sub_f32_e32 v5, v3, v5
	;; [unrolled: 1-line block ×5, first 2 shown]
	v_fma_f32 v1, v1, 2.0, -v9
	v_sub_f32_e32 v4, v2, v4
	v_fma_f32 v3, v3, 2.0, -v5
	v_sub_f32_e32 v7, v30, v7
	v_sub_f32_e32 v6, v8, v6
	v_fma_f32 v0, v0, 2.0, -v12
	v_fma_f32 v13, v29, 2.0, -v10
	;; [unrolled: 1-line block ×4, first 2 shown]
	v_sub_f32_e32 v15, v1, v3
	v_fma_f32 v3, v30, 2.0, -v7
	v_add_f32_e32 v16, v12, v5
	v_fma_f32 v5, v8, 2.0, -v6
	v_sub_f32_e32 v18, v9, v10
	v_add_f32_e32 v19, v11, v6
	v_sub_f32_e32 v21, v4, v7
	v_sub_f32_e32 v13, v0, v13
	v_fma_f32 v10, v12, 2.0, -v16
	v_sub_f32_e32 v12, v14, v3
	v_sub_f32_e32 v20, v2, v5
	v_fma_f32 v9, v9, 2.0, -v18
	v_fma_f32 v6, v11, 2.0, -v19
	v_fma_f32 v5, v4, 2.0, -v21
	v_fma_f32 v8, v0, 2.0, -v13
	v_fma_f32 v17, v1, 2.0, -v15
	v_fma_f32 v0, v14, 2.0, -v12
	v_fma_f32 v1, v2, 2.0, -v20
	v_fmamk_f32 v2, v6, 0xbf3504f3, v10
	v_fmamk_f32 v3, v5, 0xbf3504f3, v9
	;; [unrolled: 1-line block ×3, first 2 shown]
	v_sub_f32_e32 v0, v8, v0
	v_sub_f32_e32 v1, v17, v1
	v_fmac_f32_e32 v2, 0x3f3504f3, v5
	v_fmac_f32_e32 v3, 0xbf3504f3, v6
	v_fmamk_f32 v6, v19, 0x3f3504f3, v16
	v_fma_f32 v4, v8, 2.0, -v0
	v_sub_f32_e32 v11, v15, v12
	v_fma_f32 v8, v10, 2.0, -v2
	v_add_f32_e32 v10, v13, v20
	v_fmac_f32_e32 v6, 0x3f3504f3, v21
	v_fmac_f32_e32 v7, 0xbf3504f3, v19
	v_fma_f32 v5, v17, 2.0, -v1
	v_fma_f32 v9, v9, 2.0, -v3
	v_fma_f32 v12, v13, 2.0, -v10
	v_fma_f32 v13, v15, 2.0, -v11
	v_fma_f32 v14, v16, 2.0, -v6
	v_fma_f32 v15, v18, 2.0, -v7
	ds_write2_b64 v84, v[4:5], v[8:9] offset1:17
	ds_write2_b64 v84, v[12:13], v[14:15] offset0:34 offset1:51
	ds_write2_b64 v84, v[0:1], v[2:3] offset0:68 offset1:85
	;; [unrolled: 1-line block ×3, first 2 shown]
	s_waitcnt lgkmcnt(0)
	s_barrier
	buffer_gl0_inv
	s_and_b32 exec_lo, exec_lo, vcc_lo
	s_cbranch_execz .LBB0_15
; %bb.14:
	global_load_dwordx2 v[0:1], v63, s[6:7]
	ds_read_b64 v[2:3], v81
	s_mov_b32 s4, 0x1e1e1e1e
	s_mov_b32 s5, 0x3f7e1e1e
	v_mad_u64_u32 v[6:7], null, s0, v80, 0
	s_waitcnt vmcnt(0) lgkmcnt(0)
	v_mul_f32_e32 v4, v3, v1
	v_mul_f32_e32 v1, v2, v1
	v_fmac_f32_e32 v4, v2, v0
	v_fma_f32 v2, v0, v3, -v1
	v_cvt_f64_f32_e32 v[0:1], v4
	v_cvt_f64_f32_e32 v[2:3], v2
	v_mad_u64_u32 v[4:5], null, s2, v36, 0
	v_mad_u64_u32 v[8:9], null, s3, v36, v[5:6]
	;; [unrolled: 1-line block ×3, first 2 shown]
	v_mov_b32_e32 v5, v8
	v_mul_f64 v[0:1], v[0:1], s[4:5]
	v_mul_f64 v[2:3], v[2:3], s[4:5]
	v_mov_b32_e32 v7, v9
	v_cvt_f32_f64_e32 v10, v[0:1]
	v_cvt_f32_f64_e32 v11, v[2:3]
	v_lshlrev_b64 v[0:1], 3, v[4:5]
	v_lshlrev_b64 v[2:3], 3, v[6:7]
	v_add_co_u32 v0, vcc_lo, s12, v0
	v_add_co_ci_u32_e32 v1, vcc_lo, s13, v1, vcc_lo
	v_add_co_u32 v2, vcc_lo, v0, v2
	v_add_co_ci_u32_e32 v3, vcc_lo, v1, v3, vcc_lo
	global_store_dwordx2 v[2:3], v[10:11], off
	global_load_dwordx2 v[6:7], v63, s[6:7] offset:64
	ds_read2_b64 v[2:5], v84 offset0:8 offset1:16
	s_waitcnt vmcnt(0) lgkmcnt(0)
	v_mul_f32_e32 v8, v3, v7
	v_mul_f32_e32 v7, v2, v7
	v_fmac_f32_e32 v8, v2, v6
	v_fma_f32 v6, v6, v3, -v7
	v_cvt_f64_f32_e32 v[2:3], v8
	v_cvt_f64_f32_e32 v[6:7], v6
	v_mad_u64_u32 v[8:9], null, s0, v79, 0
	v_mad_u64_u32 v[9:10], null, s1, v79, v[9:10]
	v_mul_f64 v[2:3], v[2:3], s[4:5]
	v_mul_f64 v[6:7], v[6:7], s[4:5]
	v_cvt_f32_f64_e32 v2, v[2:3]
	v_cvt_f32_f64_e32 v3, v[6:7]
	v_lshlrev_b64 v[6:7], 3, v[8:9]
	v_add_co_u32 v6, vcc_lo, v0, v6
	v_add_co_ci_u32_e32 v7, vcc_lo, v1, v7, vcc_lo
	global_store_dwordx2 v[6:7], v[2:3], off
	global_load_dwordx2 v[2:3], v63, s[6:7] offset:128
	s_waitcnt vmcnt(0)
	v_mul_f32_e32 v6, v5, v3
	v_mul_f32_e32 v3, v4, v3
	v_fmac_f32_e32 v6, v4, v2
	v_fma_f32 v4, v2, v5, -v3
	v_cvt_f64_f32_e32 v[2:3], v6
	v_cvt_f64_f32_e32 v[4:5], v4
	v_mad_u64_u32 v[6:7], null, s0, v78, 0
	v_mad_u64_u32 v[7:8], null, s1, v78, v[7:8]
	v_mul_f64 v[2:3], v[2:3], s[4:5]
	v_mul_f64 v[4:5], v[4:5], s[4:5]
	v_cvt_f32_f64_e32 v2, v[2:3]
	v_cvt_f32_f64_e32 v3, v[4:5]
	v_lshlrev_b64 v[4:5], 3, v[6:7]
	v_add_co_u32 v4, vcc_lo, v0, v4
	v_add_co_ci_u32_e32 v5, vcc_lo, v1, v5, vcc_lo
	global_store_dwordx2 v[4:5], v[2:3], off
	global_load_dwordx2 v[6:7], v63, s[6:7] offset:192
	ds_read2_b64 v[2:5], v84 offset0:24 offset1:32
	s_waitcnt vmcnt(0) lgkmcnt(0)
	v_mul_f32_e32 v8, v3, v7
	v_mul_f32_e32 v7, v2, v7
	v_fmac_f32_e32 v8, v2, v6
	v_fma_f32 v6, v6, v3, -v7
	v_cvt_f64_f32_e32 v[2:3], v8
	v_cvt_f64_f32_e32 v[6:7], v6
	v_mad_u64_u32 v[8:9], null, s0, v77, 0
	v_mad_u64_u32 v[9:10], null, s1, v77, v[9:10]
	v_mul_f64 v[2:3], v[2:3], s[4:5]
	v_mul_f64 v[6:7], v[6:7], s[4:5]
	v_cvt_f32_f64_e32 v2, v[2:3]
	v_cvt_f32_f64_e32 v3, v[6:7]
	v_lshlrev_b64 v[6:7], 3, v[8:9]
	v_add_co_u32 v6, vcc_lo, v0, v6
	v_add_co_ci_u32_e32 v7, vcc_lo, v1, v7, vcc_lo
	global_store_dwordx2 v[6:7], v[2:3], off
	global_load_dwordx2 v[2:3], v63, s[6:7] offset:256
	s_waitcnt vmcnt(0)
	v_mul_f32_e32 v6, v5, v3
	v_mul_f32_e32 v3, v4, v3
	v_fmac_f32_e32 v6, v4, v2
	v_fma_f32 v4, v2, v5, -v3
	v_cvt_f64_f32_e32 v[2:3], v6
	v_cvt_f64_f32_e32 v[4:5], v4
	v_mad_u64_u32 v[6:7], null, s0, v76, 0
	v_mad_u64_u32 v[7:8], null, s1, v76, v[7:8]
	v_mul_f64 v[2:3], v[2:3], s[4:5]
	v_mul_f64 v[4:5], v[4:5], s[4:5]
	v_cvt_f32_f64_e32 v2, v[2:3]
	v_cvt_f32_f64_e32 v3, v[4:5]
	v_lshlrev_b64 v[4:5], 3, v[6:7]
	v_add_co_u32 v4, vcc_lo, v0, v4
	v_add_co_ci_u32_e32 v5, vcc_lo, v1, v5, vcc_lo
	global_store_dwordx2 v[4:5], v[2:3], off
	global_load_dwordx2 v[6:7], v63, s[6:7] offset:320
	ds_read2_b64 v[2:5], v84 offset0:40 offset1:48
	s_waitcnt vmcnt(0) lgkmcnt(0)
	v_mul_f32_e32 v8, v3, v7
	v_mul_f32_e32 v7, v2, v7
	v_fmac_f32_e32 v8, v2, v6
	v_fma_f32 v6, v6, v3, -v7
	v_cvt_f64_f32_e32 v[2:3], v8
	v_cvt_f64_f32_e32 v[6:7], v6
	v_mad_u64_u32 v[8:9], null, s0, v75, 0
	v_mad_u64_u32 v[9:10], null, s1, v75, v[9:10]
	v_mul_f64 v[2:3], v[2:3], s[4:5]
	v_mul_f64 v[6:7], v[6:7], s[4:5]
	v_cvt_f32_f64_e32 v2, v[2:3]
	v_cvt_f32_f64_e32 v3, v[6:7]
	v_lshlrev_b64 v[6:7], 3, v[8:9]
	v_add_co_u32 v6, vcc_lo, v0, v6
	v_add_co_ci_u32_e32 v7, vcc_lo, v1, v7, vcc_lo
	global_store_dwordx2 v[6:7], v[2:3], off
	global_load_dwordx2 v[2:3], v63, s[6:7] offset:384
	s_waitcnt vmcnt(0)
	v_mul_f32_e32 v6, v5, v3
	v_mul_f32_e32 v3, v4, v3
	v_fmac_f32_e32 v6, v4, v2
	v_fma_f32 v4, v2, v5, -v3
	v_cvt_f64_f32_e32 v[2:3], v6
	v_cvt_f64_f32_e32 v[4:5], v4
	v_mad_u64_u32 v[6:7], null, s0, v74, 0
	v_mad_u64_u32 v[7:8], null, s1, v74, v[7:8]
	v_mul_f64 v[2:3], v[2:3], s[4:5]
	v_mul_f64 v[4:5], v[4:5], s[4:5]
	v_cvt_f32_f64_e32 v2, v[2:3]
	v_cvt_f32_f64_e32 v3, v[4:5]
	v_lshlrev_b64 v[4:5], 3, v[6:7]
	v_add_co_u32 v4, vcc_lo, v0, v4
	v_add_co_ci_u32_e32 v5, vcc_lo, v1, v5, vcc_lo
	global_store_dwordx2 v[4:5], v[2:3], off
	global_load_dwordx2 v[6:7], v63, s[6:7] offset:448
	ds_read2_b64 v[2:5], v84 offset0:56 offset1:64
	s_waitcnt vmcnt(0) lgkmcnt(0)
	v_mul_f32_e32 v8, v3, v7
	v_mul_f32_e32 v7, v2, v7
	v_fmac_f32_e32 v8, v2, v6
	v_fma_f32 v6, v6, v3, -v7
	v_cvt_f64_f32_e32 v[2:3], v8
	v_cvt_f64_f32_e32 v[6:7], v6
	v_mad_u64_u32 v[8:9], null, s0, v73, 0
	v_mad_u64_u32 v[9:10], null, s1, v73, v[9:10]
	v_mul_f64 v[2:3], v[2:3], s[4:5]
	v_mul_f64 v[6:7], v[6:7], s[4:5]
	v_cvt_f32_f64_e32 v2, v[2:3]
	v_cvt_f32_f64_e32 v3, v[6:7]
	v_lshlrev_b64 v[6:7], 3, v[8:9]
	v_add_co_u32 v6, vcc_lo, v0, v6
	v_add_co_ci_u32_e32 v7, vcc_lo, v1, v7, vcc_lo
	global_store_dwordx2 v[6:7], v[2:3], off
	global_load_dwordx2 v[2:3], v63, s[6:7] offset:512
	s_waitcnt vmcnt(0)
	v_mul_f32_e32 v6, v5, v3
	v_mul_f32_e32 v3, v4, v3
	v_fmac_f32_e32 v6, v4, v2
	v_fma_f32 v4, v2, v5, -v3
	v_cvt_f64_f32_e32 v[2:3], v6
	v_cvt_f64_f32_e32 v[4:5], v4
	v_mad_u64_u32 v[6:7], null, s0, v72, 0
	v_mad_u64_u32 v[7:8], null, s1, v72, v[7:8]
	v_mul_f64 v[2:3], v[2:3], s[4:5]
	v_mul_f64 v[4:5], v[4:5], s[4:5]
	v_cvt_f32_f64_e32 v2, v[2:3]
	v_cvt_f32_f64_e32 v3, v[4:5]
	v_lshlrev_b64 v[4:5], 3, v[6:7]
	v_add_co_u32 v4, vcc_lo, v0, v4
	v_add_co_ci_u32_e32 v5, vcc_lo, v1, v5, vcc_lo
	global_store_dwordx2 v[4:5], v[2:3], off
	global_load_dwordx2 v[6:7], v63, s[6:7] offset:576
	ds_read2_b64 v[2:5], v84 offset0:72 offset1:80
	s_waitcnt vmcnt(0) lgkmcnt(0)
	v_mul_f32_e32 v8, v3, v7
	v_mul_f32_e32 v7, v2, v7
	v_fmac_f32_e32 v8, v2, v6
	v_fma_f32 v6, v6, v3, -v7
	v_cvt_f64_f32_e32 v[2:3], v8
	v_cvt_f64_f32_e32 v[6:7], v6
	v_mad_u64_u32 v[8:9], null, s0, v71, 0
	v_mad_u64_u32 v[9:10], null, s1, v71, v[9:10]
	v_mul_f64 v[2:3], v[2:3], s[4:5]
	v_mul_f64 v[6:7], v[6:7], s[4:5]
	v_cvt_f32_f64_e32 v2, v[2:3]
	v_cvt_f32_f64_e32 v3, v[6:7]
	v_lshlrev_b64 v[6:7], 3, v[8:9]
	v_add_co_u32 v6, vcc_lo, v0, v6
	v_add_co_ci_u32_e32 v7, vcc_lo, v1, v7, vcc_lo
	global_store_dwordx2 v[6:7], v[2:3], off
	global_load_dwordx2 v[2:3], v63, s[6:7] offset:640
	s_waitcnt vmcnt(0)
	v_mul_f32_e32 v6, v5, v3
	v_mul_f32_e32 v3, v4, v3
	v_fmac_f32_e32 v6, v4, v2
	v_fma_f32 v4, v2, v5, -v3
	v_cvt_f64_f32_e32 v[2:3], v6
	v_cvt_f64_f32_e32 v[4:5], v4
	v_mad_u64_u32 v[6:7], null, s0, v70, 0
	v_mad_u64_u32 v[7:8], null, s1, v70, v[7:8]
	v_mul_f64 v[2:3], v[2:3], s[4:5]
	v_mul_f64 v[4:5], v[4:5], s[4:5]
	v_cvt_f32_f64_e32 v2, v[2:3]
	v_cvt_f32_f64_e32 v3, v[4:5]
	v_lshlrev_b64 v[4:5], 3, v[6:7]
	v_add_co_u32 v4, vcc_lo, v0, v4
	v_add_co_ci_u32_e32 v5, vcc_lo, v1, v5, vcc_lo
	global_store_dwordx2 v[4:5], v[2:3], off
	global_load_dwordx2 v[6:7], v63, s[6:7] offset:704
	ds_read2_b64 v[2:5], v84 offset0:88 offset1:96
	s_waitcnt vmcnt(0) lgkmcnt(0)
	v_mul_f32_e32 v8, v3, v7
	v_mul_f32_e32 v7, v2, v7
	v_fmac_f32_e32 v8, v2, v6
	v_fma_f32 v6, v6, v3, -v7
	v_cvt_f64_f32_e32 v[2:3], v8
	v_cvt_f64_f32_e32 v[6:7], v6
	v_mad_u64_u32 v[8:9], null, s0, v69, 0
	v_mad_u64_u32 v[9:10], null, s1, v69, v[9:10]
	v_mul_f64 v[2:3], v[2:3], s[4:5]
	v_mul_f64 v[6:7], v[6:7], s[4:5]
	v_cvt_f32_f64_e32 v2, v[2:3]
	v_cvt_f32_f64_e32 v3, v[6:7]
	v_lshlrev_b64 v[6:7], 3, v[8:9]
	v_add_co_u32 v6, vcc_lo, v0, v6
	v_add_co_ci_u32_e32 v7, vcc_lo, v1, v7, vcc_lo
	global_store_dwordx2 v[6:7], v[2:3], off
	global_load_dwordx2 v[2:3], v63, s[6:7] offset:768
	s_waitcnt vmcnt(0)
	v_mul_f32_e32 v6, v5, v3
	v_mul_f32_e32 v3, v4, v3
	v_fmac_f32_e32 v6, v4, v2
	v_fma_f32 v4, v2, v5, -v3
	v_cvt_f64_f32_e32 v[2:3], v6
	v_cvt_f64_f32_e32 v[4:5], v4
	v_mad_u64_u32 v[6:7], null, s0, v68, 0
	v_mad_u64_u32 v[7:8], null, s1, v68, v[7:8]
	v_mul_f64 v[2:3], v[2:3], s[4:5]
	v_mul_f64 v[4:5], v[4:5], s[4:5]
	v_cvt_f32_f64_e32 v2, v[2:3]
	v_cvt_f32_f64_e32 v3, v[4:5]
	v_lshlrev_b64 v[4:5], 3, v[6:7]
	v_add_co_u32 v4, vcc_lo, v0, v4
	v_add_co_ci_u32_e32 v5, vcc_lo, v1, v5, vcc_lo
	global_store_dwordx2 v[4:5], v[2:3], off
	global_load_dwordx2 v[6:7], v63, s[6:7] offset:832
	ds_read2_b64 v[2:5], v84 offset0:104 offset1:112
	s_waitcnt vmcnt(0) lgkmcnt(0)
	v_mul_f32_e32 v8, v3, v7
	v_mul_f32_e32 v7, v2, v7
	v_fmac_f32_e32 v8, v2, v6
	v_fma_f32 v6, v6, v3, -v7
	v_cvt_f64_f32_e32 v[2:3], v8
	v_cvt_f64_f32_e32 v[6:7], v6
	v_mad_u64_u32 v[8:9], null, s0, v67, 0
	v_mad_u64_u32 v[9:10], null, s1, v67, v[9:10]
	v_mul_f64 v[2:3], v[2:3], s[4:5]
	v_mul_f64 v[6:7], v[6:7], s[4:5]
	v_cvt_f32_f64_e32 v2, v[2:3]
	v_cvt_f32_f64_e32 v3, v[6:7]
	v_lshlrev_b64 v[6:7], 3, v[8:9]
	v_add_co_u32 v6, vcc_lo, v0, v6
	v_add_co_ci_u32_e32 v7, vcc_lo, v1, v7, vcc_lo
	global_store_dwordx2 v[6:7], v[2:3], off
	global_load_dwordx2 v[2:3], v63, s[6:7] offset:896
	s_waitcnt vmcnt(0)
	v_mul_f32_e32 v6, v5, v3
	v_mul_f32_e32 v3, v4, v3
	v_fmac_f32_e32 v6, v4, v2
	v_fma_f32 v4, v2, v5, -v3
	v_cvt_f64_f32_e32 v[2:3], v6
	v_cvt_f64_f32_e32 v[4:5], v4
	v_mad_u64_u32 v[6:7], null, s0, v66, 0
	v_mad_u64_u32 v[7:8], null, s1, v66, v[7:8]
	v_mul_f64 v[2:3], v[2:3], s[4:5]
	v_mul_f64 v[4:5], v[4:5], s[4:5]
	v_cvt_f32_f64_e32 v2, v[2:3]
	v_cvt_f32_f64_e32 v3, v[4:5]
	v_lshlrev_b64 v[4:5], 3, v[6:7]
	v_add_co_u32 v4, vcc_lo, v0, v4
	v_add_co_ci_u32_e32 v5, vcc_lo, v1, v5, vcc_lo
	global_store_dwordx2 v[4:5], v[2:3], off
	global_load_dwordx2 v[6:7], v63, s[6:7] offset:960
	ds_read2_b64 v[2:5], v84 offset0:120 offset1:128
	s_waitcnt vmcnt(0) lgkmcnt(0)
	v_mul_f32_e32 v8, v3, v7
	v_mul_f32_e32 v7, v2, v7
	v_fmac_f32_e32 v8, v2, v6
	v_fma_f32 v6, v6, v3, -v7
	v_cvt_f64_f32_e32 v[2:3], v8
	v_cvt_f64_f32_e32 v[6:7], v6
	v_mad_u64_u32 v[8:9], null, s0, v65, 0
	v_mad_u64_u32 v[9:10], null, s1, v65, v[9:10]
	v_mul_f64 v[2:3], v[2:3], s[4:5]
	v_mul_f64 v[6:7], v[6:7], s[4:5]
	v_cvt_f32_f64_e32 v2, v[2:3]
	v_cvt_f32_f64_e32 v3, v[6:7]
	v_lshlrev_b64 v[6:7], 3, v[8:9]
	v_add_co_u32 v6, vcc_lo, v0, v6
	v_add_co_ci_u32_e32 v7, vcc_lo, v1, v7, vcc_lo
	global_store_dwordx2 v[6:7], v[2:3], off
	global_load_dwordx2 v[2:3], v63, s[6:7] offset:1024
	s_waitcnt vmcnt(0)
	v_mul_f32_e32 v6, v5, v3
	v_mul_f32_e32 v3, v4, v3
	v_fmac_f32_e32 v6, v4, v2
	v_fma_f32 v4, v2, v5, -v3
	v_cvt_f64_f32_e32 v[2:3], v6
	v_cvt_f64_f32_e32 v[4:5], v4
	v_mad_u64_u32 v[6:7], null, s0, v64, 0
	v_mad_u64_u32 v[7:8], null, s1, v64, v[7:8]
	v_mul_f64 v[2:3], v[2:3], s[4:5]
	v_mul_f64 v[4:5], v[4:5], s[4:5]
	v_cvt_f32_f64_e32 v2, v[2:3]
	v_cvt_f32_f64_e32 v3, v[4:5]
	v_lshlrev_b64 v[4:5], 3, v[6:7]
	v_add_co_u32 v0, vcc_lo, v0, v4
	v_add_co_ci_u32_e32 v1, vcc_lo, v1, v5, vcc_lo
	global_store_dwordx2 v[0:1], v[2:3], off
.LBB0_15:
	s_endpgm
	.section	.rodata,"a",@progbits
	.p2align	6, 0x0
	.amdhsa_kernel bluestein_single_back_len136_dim1_sp_op_CI_CI
		.amdhsa_group_segment_fixed_size 7616
		.amdhsa_private_segment_fixed_size 0
		.amdhsa_kernarg_size 104
		.amdhsa_user_sgpr_count 6
		.amdhsa_user_sgpr_private_segment_buffer 1
		.amdhsa_user_sgpr_dispatch_ptr 0
		.amdhsa_user_sgpr_queue_ptr 0
		.amdhsa_user_sgpr_kernarg_segment_ptr 1
		.amdhsa_user_sgpr_dispatch_id 0
		.amdhsa_user_sgpr_flat_scratch_init 0
		.amdhsa_user_sgpr_private_segment_size 0
		.amdhsa_wavefront_size32 1
		.amdhsa_uses_dynamic_stack 0
		.amdhsa_system_sgpr_private_segment_wavefront_offset 0
		.amdhsa_system_sgpr_workgroup_id_x 1
		.amdhsa_system_sgpr_workgroup_id_y 0
		.amdhsa_system_sgpr_workgroup_id_z 0
		.amdhsa_system_sgpr_workgroup_info 0
		.amdhsa_system_vgpr_workitem_id 0
		.amdhsa_next_free_vgpr 233
		.amdhsa_next_free_sgpr 14
		.amdhsa_reserve_vcc 1
		.amdhsa_reserve_flat_scratch 0
		.amdhsa_float_round_mode_32 0
		.amdhsa_float_round_mode_16_64 0
		.amdhsa_float_denorm_mode_32 3
		.amdhsa_float_denorm_mode_16_64 3
		.amdhsa_dx10_clamp 1
		.amdhsa_ieee_mode 1
		.amdhsa_fp16_overflow 0
		.amdhsa_workgroup_processor_mode 1
		.amdhsa_memory_ordered 1
		.amdhsa_forward_progress 0
		.amdhsa_shared_vgpr_count 0
		.amdhsa_exception_fp_ieee_invalid_op 0
		.amdhsa_exception_fp_denorm_src 0
		.amdhsa_exception_fp_ieee_div_zero 0
		.amdhsa_exception_fp_ieee_overflow 0
		.amdhsa_exception_fp_ieee_underflow 0
		.amdhsa_exception_fp_ieee_inexact 0
		.amdhsa_exception_int_div_zero 0
	.end_amdhsa_kernel
	.text
.Lfunc_end0:
	.size	bluestein_single_back_len136_dim1_sp_op_CI_CI, .Lfunc_end0-bluestein_single_back_len136_dim1_sp_op_CI_CI
                                        ; -- End function
	.section	.AMDGPU.csdata,"",@progbits
; Kernel info:
; codeLenInByte = 16100
; NumSgprs: 16
; NumVgprs: 233
; ScratchSize: 0
; MemoryBound: 0
; FloatMode: 240
; IeeeMode: 1
; LDSByteSize: 7616 bytes/workgroup (compile time only)
; SGPRBlocks: 1
; VGPRBlocks: 29
; NumSGPRsForWavesPerEU: 16
; NumVGPRsForWavesPerEU: 233
; Occupancy: 4
; WaveLimiterHint : 1
; COMPUTE_PGM_RSRC2:SCRATCH_EN: 0
; COMPUTE_PGM_RSRC2:USER_SGPR: 6
; COMPUTE_PGM_RSRC2:TRAP_HANDLER: 0
; COMPUTE_PGM_RSRC2:TGID_X_EN: 1
; COMPUTE_PGM_RSRC2:TGID_Y_EN: 0
; COMPUTE_PGM_RSRC2:TGID_Z_EN: 0
; COMPUTE_PGM_RSRC2:TIDIG_COMP_CNT: 0
	.text
	.p2alignl 6, 3214868480
	.fill 48, 4, 3214868480
	.type	__hip_cuid_e739315274556f32,@object ; @__hip_cuid_e739315274556f32
	.section	.bss,"aw",@nobits
	.globl	__hip_cuid_e739315274556f32
__hip_cuid_e739315274556f32:
	.byte	0                               ; 0x0
	.size	__hip_cuid_e739315274556f32, 1

	.ident	"AMD clang version 19.0.0git (https://github.com/RadeonOpenCompute/llvm-project roc-6.4.0 25133 c7fe45cf4b819c5991fe208aaa96edf142730f1d)"
	.section	".note.GNU-stack","",@progbits
	.addrsig
	.addrsig_sym __hip_cuid_e739315274556f32
	.amdgpu_metadata
---
amdhsa.kernels:
  - .args:
      - .actual_access:  read_only
        .address_space:  global
        .offset:         0
        .size:           8
        .value_kind:     global_buffer
      - .actual_access:  read_only
        .address_space:  global
        .offset:         8
        .size:           8
        .value_kind:     global_buffer
      - .actual_access:  read_only
        .address_space:  global
        .offset:         16
        .size:           8
        .value_kind:     global_buffer
      - .actual_access:  read_only
        .address_space:  global
        .offset:         24
        .size:           8
        .value_kind:     global_buffer
      - .actual_access:  read_only
        .address_space:  global
        .offset:         32
        .size:           8
        .value_kind:     global_buffer
      - .offset:         40
        .size:           8
        .value_kind:     by_value
      - .address_space:  global
        .offset:         48
        .size:           8
        .value_kind:     global_buffer
      - .address_space:  global
        .offset:         56
        .size:           8
        .value_kind:     global_buffer
      - .address_space:  global
        .offset:         64
        .size:           8
        .value_kind:     global_buffer
      - .address_space:  global
        .offset:         72
        .size:           8
        .value_kind:     global_buffer
      - .offset:         80
        .size:           4
        .value_kind:     by_value
      - .address_space:  global
        .offset:         88
        .size:           8
        .value_kind:     global_buffer
      - .address_space:  global
        .offset:         96
        .size:           8
        .value_kind:     global_buffer
    .group_segment_fixed_size: 7616
    .kernarg_segment_align: 8
    .kernarg_segment_size: 104
    .language:       OpenCL C
    .language_version:
      - 2
      - 0
    .max_flat_workgroup_size: 119
    .name:           bluestein_single_back_len136_dim1_sp_op_CI_CI
    .private_segment_fixed_size: 0
    .sgpr_count:     16
    .sgpr_spill_count: 0
    .symbol:         bluestein_single_back_len136_dim1_sp_op_CI_CI.kd
    .uniform_work_group_size: 1
    .uses_dynamic_stack: false
    .vgpr_count:     233
    .vgpr_spill_count: 0
    .wavefront_size: 32
    .workgroup_processor_mode: 1
amdhsa.target:   amdgcn-amd-amdhsa--gfx1030
amdhsa.version:
  - 1
  - 2
...

	.end_amdgpu_metadata
